;; amdgpu-corpus repo=zjin-lcf/HeCBench kind=compiled arch=gfx1250 opt=O3
	.amdgcn_target "amdgcn-amd-amdhsa--gfx1250"
	.amdhsa_code_object_version 6
	.text
	.protected	_Z21k_forward_rush_larsenPdddPKdi ; -- Begin function _Z21k_forward_rush_larsenPdddPKdi
	.globl	_Z21k_forward_rush_larsenPdddPKdi
	.p2align	8
	.type	_Z21k_forward_rush_larsenPdddPKdi,@function
_Z21k_forward_rush_larsenPdddPKdi:      ; @_Z21k_forward_rush_larsenPdddPKdi
; %bb.0:
	s_clause 0x1
	s_load_b32 s2, s[0:1], 0x34
	s_load_b32 s6, s[0:1], 0x20
	s_bfe_u32 s3, ttmp6, 0x4000c
	s_and_b32 s4, ttmp6, 15
	s_add_co_i32 s3, s3, 1
	s_getreg_b32 s5, hwreg(HW_REG_IB_STS2, 6, 4)
	s_mul_i32 s3, ttmp9, s3
	s_delay_alu instid0(SALU_CYCLE_1) | instskip(SKIP_4) | instid1(SALU_CYCLE_1)
	s_add_co_i32 s4, s4, s3
	s_wait_kmcnt 0x0
	s_and_b32 s2, s2, 0xffff
	s_cmp_eq_u32 s5, 0
	s_cselect_b32 s3, ttmp9, s4
	v_mad_u32 v2, s3, s2, v0
	s_mov_b32 s2, exec_lo
	s_delay_alu instid0(VALU_DEP_1)
	v_cmpx_gt_i32_e64 s6, v2
	s_cbranch_execz .LBB0_86
; %bb.1:
	v_add3_u32 v44, s6, s6, v2
	s_lshl_b32 s2, s6, 1
	s_load_b256 s[8:15], s[0:1], 0x0
	s_wait_xcnt 0x0
	s_mov_b64 s[0:1], 0xc00db6db6db6db6e
	v_mov_b64_e32 v[12:13], 0x3e928af3fca7ab0c
	v_add_nc_u32_e32 v106, s6, v44
	v_mov_b64_e32 v[32:33], 0x3ec71dee623fde64
	s_ashr_i32 s7, s6, 31
                                        ; kill: killed $vgpr2
	s_delay_alu instid0(SALU_CYCLE_1) | instskip(NEXT) | instid1(VALU_DEP_2)
	s_lshl_b64 s[16:17], s[6:7], 3
	v_add_nc_u32_e32 v28, s6, v106
	s_delay_alu instid0(VALU_DEP_1) | instskip(NEXT) | instid1(VALU_DEP_1)
	v_add_nc_u32_e32 v94, s6, v28
	v_add_nc_u32_e32 v78, s6, v94
	s_delay_alu instid0(VALU_DEP_1) | instskip(NEXT) | instid1(VALU_DEP_1)
	v_add_nc_u32_e32 v64, s6, v78
	;; [unrolled: 3-line block ×5, first 2 shown]
	v_mad_u32 v112, s6, -3, v122
	s_delay_alu instid0(VALU_DEP_1) | instskip(NEXT) | instid1(VALU_DEP_1)
	v_add_nc_u32_e32 v92, s2, v112
	v_add_nc_u32_e32 v82, s2, v92
	s_delay_alu instid0(VALU_DEP_1)
	v_add_nc_u32_e32 v42, s6, v82
	s_wait_kmcnt 0x0
	s_clause 0x1
	global_load_b64 v[0:1], v42, s[8:9] scale_offset
	global_load_b64 v[4:5], v42, s[14:15] scale_offset
	global_load_b64 v[58:59], v2, s[8:9] scale_offset
	s_wait_loadcnt 0x2
	v_div_scale_f64 v[10:11], vcc_lo, v[0:1], 0x401c0000, v[0:1]
	s_wait_loadcnt 0x1
	scratch_store_b64 off, v[4:5], off offset:112 ; 8-byte Folded Spill
	s_wait_xcnt 0x0
	v_div_scale_f64 v[4:5], null, 0x401c0000, 0x401c0000, v[0:1]
	s_delay_alu instid0(VALU_DEP_1) | instskip(SKIP_1) | instid1(TRANS32_DEP_1)
	v_rcp_f64_e32 v[6:7], v[4:5]
	v_nop
	v_fma_f64 v[8:9], -v[4:5], v[6:7], 1.0
	s_delay_alu instid0(VALU_DEP_1) | instskip(NEXT) | instid1(VALU_DEP_1)
	v_fmac_f64_e32 v[6:7], v[6:7], v[8:9]
	v_fma_f64 v[8:9], -v[4:5], v[6:7], 1.0
	s_delay_alu instid0(VALU_DEP_1) | instskip(NEXT) | instid1(VALU_DEP_1)
	v_fmac_f64_e32 v[6:7], v[6:7], v[8:9]
	v_mul_f64_e32 v[8:9], v[10:11], v[6:7]
	s_delay_alu instid0(VALU_DEP_1) | instskip(NEXT) | instid1(VALU_DEP_1)
	v_dual_fma_f64 v[4:5], -v[4:5], v[8:9], v[10:11] :: v_dual_add_nc_u32 v54, s6, v42
	v_div_fmas_f64 v[4:5], v[4:5], v[6:7], v[8:9]
	s_delay_alu instid0(VALU_DEP_1) | instskip(NEXT) | instid1(VALU_DEP_1)
	v_div_fixup_f64 v[72:73], v[4:5], 0x401c0000, v[0:1]
	v_add_f64_e64 v[4:5], -v[72:73], s[0:1]
	s_delay_alu instid0(VALU_DEP_1) | instskip(NEXT) | instid1(VALU_DEP_1)
	v_mul_f64_e32 v[6:7], 0x3ff71547652b82fe, v[4:5]
	v_rndne_f64_e32 v[6:7], v[6:7]
	s_delay_alu instid0(VALU_DEP_1) | instskip(SKIP_1) | instid1(VALU_DEP_2)
	v_fmamk_f64 v[8:9], v[6:7], 0xbfe62e42fefa39ef, v[4:5]
	v_cvt_i32_f64_e32 v3, v[6:7]
	v_fmac_f64_e32 v[8:9], 0xbc7abc9e3b39803f, v[6:7]
	s_delay_alu instid0(VALU_DEP_1) | instskip(NEXT) | instid1(VALU_DEP_1)
	v_fmamk_f64 v[10:11], v[8:9], 0x3e5ade156a5dcb37, v[12:13]
	v_fmaak_f64 v[10:11], v[8:9], v[10:11], 0x3ec71dee623fde64
	s_delay_alu instid0(VALU_DEP_1) | instskip(NEXT) | instid1(VALU_DEP_1)
	v_fmaak_f64 v[10:11], v[8:9], v[10:11], 0x3efa01997c89e6b0
	v_fmaak_f64 v[10:11], v[8:9], v[10:11], 0x3f2a01a014761f6e
	s_delay_alu instid0(VALU_DEP_1) | instskip(NEXT) | instid1(VALU_DEP_1)
	v_fmaak_f64 v[10:11], v[8:9], v[10:11], 0x3f56c16c1852b7b0
	;; [unrolled: 3-line block ×4, first 2 shown]
	v_fma_f64 v[10:11], v[8:9], v[10:11], 1.0
	s_delay_alu instid0(VALU_DEP_1) | instskip(SKIP_1) | instid1(VALU_DEP_2)
	v_fma_f64 v[6:7], v[8:9], v[10:11], 1.0
	v_div_scale_f64 v[10:11], null, 0x40240000, 0x40240000, v[0:1]
	v_ldexp_f64 v[6:7], v[6:7], v3
	s_delay_alu instid0(VALU_DEP_2) | instskip(NEXT) | instid1(VALU_DEP_1)
	v_rcp_f64_e32 v[18:19], v[10:11]
	v_add_f64_e32 v[6:7], 1.0, v[6:7]
	s_delay_alu instid0(TRANS32_DEP_1) | instskip(NEXT) | instid1(VALU_DEP_2)
	v_fma_f64 v[22:23], -v[10:11], v[18:19], 1.0
	v_div_scale_f64 v[8:9], null, v[6:7], v[6:7], 1.0
	v_div_scale_f64 v[24:25], vcc_lo, 1.0, v[6:7], 1.0
	s_delay_alu instid0(VALU_DEP_3) | instskip(NEXT) | instid1(VALU_DEP_3)
	v_fmac_f64_e32 v[18:19], v[18:19], v[22:23]
	v_rcp_f64_e32 v[14:15], v[8:9]
	s_delay_alu instid0(VALU_DEP_1) | instskip(NEXT) | instid1(TRANS32_DEP_1)
	v_fma_f64 v[22:23], -v[10:11], v[18:19], 1.0
	v_fma_f64 v[20:21], -v[8:9], v[14:15], 1.0
	s_delay_alu instid0(VALU_DEP_2) | instskip(NEXT) | instid1(VALU_DEP_2)
	v_fmac_f64_e32 v[18:19], v[18:19], v[22:23]
	v_fmac_f64_e32 v[14:15], v[14:15], v[20:21]
	s_delay_alu instid0(VALU_DEP_1) | instskip(NEXT) | instid1(VALU_DEP_1)
	v_fma_f64 v[20:21], -v[8:9], v[14:15], 1.0
	v_fmac_f64_e32 v[14:15], v[14:15], v[20:21]
	v_div_scale_f64 v[20:21], s0, v[0:1], 0x40240000, v[0:1]
	s_delay_alu instid0(VALU_DEP_2) | instskip(NEXT) | instid1(VALU_DEP_2)
	v_mul_f64_e32 v[22:23], v[24:25], v[14:15]
	v_mul_f64_e32 v[30:31], v[20:21], v[18:19]
	s_delay_alu instid0(VALU_DEP_2) | instskip(NEXT) | instid1(VALU_DEP_2)
	v_fma_f64 v[8:9], -v[8:9], v[22:23], v[24:25]
	v_fma_f64 v[20:21], -v[10:11], v[30:31], v[20:21]
	s_delay_alu instid0(VALU_DEP_2) | instskip(SKIP_2) | instid1(VALU_DEP_3)
	v_div_fmas_f64 v[10:11], v[8:9], v[14:15], v[22:23]
	s_mov_b32 vcc_lo, s0
	v_mul_f64_e32 v[14:15], 0x3fb642c8590b2162, v[0:1]
	v_div_fmas_f64 v[8:9], v[20:21], v[18:19], v[30:31]
	s_delay_alu instid0(VALU_DEP_3) | instskip(NEXT) | instid1(VALU_DEP_3)
	v_div_fixup_f64 v[6:7], v[10:11], v[6:7], 1.0
	v_mul_f64_e32 v[20:21], 0x3ff71547652b82fe, v[14:15]
	s_delay_alu instid0(VALU_DEP_3) | instskip(SKIP_2) | instid1(VALU_DEP_4)
	v_div_fixup_f64 v[38:39], v[8:9], 0x40240000, v[0:1]
	v_cmp_nlt_f64_e64 s3, 0x40900000, v[14:15]
	v_cmp_ngt_f64_e64 s4, 0xc090cc00, v[14:15]
	v_rndne_f64_e32 v[20:21], v[20:21]
	s_delay_alu instid0(VALU_DEP_4) | instskip(NEXT) | instid1(VALU_DEP_2)
	v_add_f64_e64 v[8:9], 0xc0120000, -v[38:39]
	v_fmamk_f64 v[24:25], v[20:21], 0xbfe62e42fefa39ef, v[14:15]
	s_delay_alu instid0(VALU_DEP_2)
	v_mul_f64_e32 v[18:19], 0x3ff71547652b82fe, v[8:9]
	v_cvt_i32_f64_e32 v17, v[20:21]
	v_cmp_nlt_f64_e64 s1, 0x40900000, v[8:9]
	v_cmp_ngt_f64_e64 s2, 0xc090cc00, v[8:9]
	v_fmac_f64_e32 v[24:25], 0xbc7abc9e3b39803f, v[20:21]
	v_mov_b64_e32 v[20:21], 1.0
	v_rndne_f64_e32 v[18:19], v[18:19]
	s_delay_alu instid0(VALU_DEP_1) | instskip(SKIP_1) | instid1(VALU_DEP_2)
	v_fmamk_f64 v[22:23], v[18:19], 0xbfe62e42fefa39ef, v[8:9]
	v_cvt_i32_f64_e32 v3, v[18:19]
	v_fmac_f64_e32 v[22:23], 0xbc7abc9e3b39803f, v[18:19]
	s_delay_alu instid0(VALU_DEP_1) | instskip(SKIP_1) | instid1(VALU_DEP_2)
	v_fmamk_f64 v[30:31], v[22:23], 0x3e5ade156a5dcb37, v[12:13]
	v_fmac_f64_e32 v[12:13], 0x3e5ade156a5dcb37, v[24:25]
	v_fmaak_f64 v[30:31], v[22:23], v[30:31], 0x3ec71dee623fde64
	s_delay_alu instid0(VALU_DEP_1) | instskip(NEXT) | instid1(VALU_DEP_1)
	v_fmaak_f64 v[30:31], v[22:23], v[30:31], 0x3efa01997c89e6b0
	v_fmaak_f64 v[30:31], v[22:23], v[30:31], 0x3f2a01a014761f6e
	s_delay_alu instid0(VALU_DEP_4) | instskip(SKIP_1) | instid1(VALU_DEP_1)
	v_fmac_f64_e32 v[32:33], v[24:25], v[12:13]
	v_mov_b64_e32 v[12:13], 0x3efa01997c89e6b0
	v_fmac_f64_e32 v[12:13], v[24:25], v[32:33]
	v_mov_b64_e32 v[32:33], 0x3f2a01a014761f6e
	s_delay_alu instid0(VALU_DEP_1) | instskip(SKIP_1) | instid1(VALU_DEP_1)
	v_fmac_f64_e32 v[32:33], v[24:25], v[12:13]
	v_mov_b64_e32 v[12:13], 0x3f56c16c1852b7b0
	v_fmac_f64_e32 v[12:13], v[24:25], v[32:33]
	v_mov_b64_e32 v[32:33], 0x3f81111111122322
	s_delay_alu instid0(VALU_DEP_1) | instskip(SKIP_1) | instid1(VALU_DEP_1)
	v_fmac_f64_e32 v[32:33], v[24:25], v[12:13]
	v_mov_b64_e32 v[12:13], 0x3fa55555555502a1
	v_fmac_f64_e32 v[12:13], v[24:25], v[32:33]
	v_mov_b64_e32 v[32:33], 0x3fc5555555555511
	s_delay_alu instid0(VALU_DEP_1) | instskip(SKIP_2) | instid1(VALU_DEP_2)
	v_fmac_f64_e32 v[32:33], v[24:25], v[12:13]
	v_fmaak_f64 v[12:13], v[22:23], v[30:31], 0x3f56c16c1852b7b0
	v_mov_b64_e32 v[30:31], 0x3fe000000000000b
	v_fmaak_f64 v[12:13], v[22:23], v[12:13], 0x3f81111111122322
	s_delay_alu instid0(VALU_DEP_1) | instskip(NEXT) | instid1(VALU_DEP_1)
	v_fmaak_f64 v[12:13], v[22:23], v[12:13], 0x3fa55555555502a1
	v_fmaak_f64 v[12:13], v[22:23], v[12:13], 0x3fc5555555555511
	s_delay_alu instid0(VALU_DEP_1) | instskip(SKIP_1) | instid1(VALU_DEP_2)
	v_fmaak_f64 v[12:13], v[22:23], v[12:13], 0x3fe000000000000b
	v_fmac_f64_e32 v[30:31], v[24:25], v[32:33]
	v_fma_f64 v[12:13], v[22:23], v[12:13], 1.0
	s_delay_alu instid0(VALU_DEP_2) | instskip(NEXT) | instid1(VALU_DEP_2)
	v_fma_f64 v[30:31], v[24:25], v[30:31], 1.0
	v_fma_f64 v[12:13], v[22:23], v[12:13], 1.0
	s_delay_alu instid0(VALU_DEP_2) | instskip(NEXT) | instid1(VALU_DEP_2)
	v_fma_f64 v[18:19], v[24:25], v[30:31], 1.0
	v_ldexp_f64 v[12:13], v[12:13], v3
	v_ashrrev_i32_e32 v3, 31, v2
	s_delay_alu instid0(VALU_DEP_1) | instskip(NEXT) | instid1(VALU_DEP_4)
	v_lshlrev_b64_e32 v[14:15], 3, v[2:3]
	v_ldexp_f64 v[18:19], v[18:19], v17
	s_delay_alu instid0(VALU_DEP_4) | instskip(NEXT) | instid1(VALU_DEP_1)
	v_dual_add_f64 v[12:13], 1.0, v[12:13] :: v_dual_add_nc_u32 v17, s6, v54
	v_add_nc_u32_e32 v27, s6, v17
	s_delay_alu instid0(VALU_DEP_1) | instskip(NEXT) | instid1(VALU_DEP_4)
	v_add_nc_u32_e32 v29, s6, v27
	v_fmamk_f64 v[18:19], v[18:19], 0x402b29a35e29ac20, v[20:21]
	s_delay_alu instid0(VALU_DEP_4) | instskip(SKIP_1) | instid1(VALU_DEP_3)
	v_div_scale_f64 v[20:21], null, v[12:13], v[12:13], 0x407c2000
	v_div_scale_f64 v[36:37], vcc_lo, 0x407c2000, v[12:13], 0x407c2000
	v_div_scale_f64 v[22:23], null, v[18:19], v[18:19], 0x40180000
	s_delay_alu instid0(VALU_DEP_3) | instskip(NEXT) | instid1(VALU_DEP_1)
	v_rcp_f64_e32 v[24:25], v[20:21]
	v_rcp_f64_e32 v[30:31], v[22:23]
	s_delay_alu instid0(TRANS32_DEP_2) | instskip(NEXT) | instid1(TRANS32_DEP_1)
	v_fma_f64 v[32:33], -v[20:21], v[24:25], 1.0
	v_fma_f64 v[34:35], -v[22:23], v[30:31], 1.0
	s_delay_alu instid0(VALU_DEP_2) | instskip(NEXT) | instid1(VALU_DEP_2)
	v_fmac_f64_e32 v[24:25], v[24:25], v[32:33]
	v_fmac_f64_e32 v[30:31], v[30:31], v[34:35]
	s_delay_alu instid0(VALU_DEP_2) | instskip(NEXT) | instid1(VALU_DEP_2)
	v_fma_f64 v[32:33], -v[20:21], v[24:25], 1.0
	v_fma_f64 v[34:35], -v[22:23], v[30:31], 1.0
	s_delay_alu instid0(VALU_DEP_2) | instskip(SKIP_1) | instid1(VALU_DEP_3)
	v_fmac_f64_e32 v[24:25], v[24:25], v[32:33]
	v_div_scale_f64 v[32:33], s0, 0x40180000, v[18:19], 0x40180000
	v_fmac_f64_e32 v[30:31], v[30:31], v[34:35]
	s_delay_alu instid0(VALU_DEP_3) | instskip(NEXT) | instid1(VALU_DEP_1)
	v_mul_f64_e32 v[34:35], v[36:37], v[24:25]
	v_fma_f64 v[20:21], -v[20:21], v[34:35], v[36:37]
	s_delay_alu instid0(VALU_DEP_1) | instskip(SKIP_3) | instid1(VALU_DEP_2)
	v_div_fmas_f64 v[20:21], v[20:21], v[24:25], v[34:35]
	v_add_nc_u32_e32 v34, s6, v29
	s_mov_b32 vcc_lo, s0
	v_cmp_ngt_f64_e64 s0, 0xc090cc00, v[4:5]
	v_add_nc_u32_e32 v35, s6, v34
	s_delay_alu instid0(VALU_DEP_1) | instskip(NEXT) | instid1(VALU_DEP_1)
	v_add_nc_u32_e32 v36, s6, v35
	v_dual_mul_f64 v[40:41], v[32:33], v[30:31] :: v_dual_add_nc_u32 v37, s6, v36
	s_delay_alu instid0(VALU_DEP_1) | instskip(NEXT) | instid1(VALU_DEP_1)
	v_fma_f64 v[22:23], -v[22:23], v[40:41], v[32:33]
	v_div_fmas_f64 v[22:23], v[22:23], v[30:31], v[40:41]
	v_cmp_nlt_f64_e32 vcc_lo, 0x40900000, v[4:5]
	s_delay_alu instid0(VALU_DEP_4) | instskip(SKIP_1) | instid1(VALU_DEP_2)
	v_add_nc_u32_e32 v40, s6, v37
	v_add_nc_u64_e32 v[4:5], s[8:9], v[14:15]
	v_dual_mov_b32 v30, v42 :: v_dual_add_nc_u32 v41, s6, v40
	scratch_store_b64 off, v[30:31], off offset:48 ; 8-byte Folded Spill
	v_add_nc_u32_e32 v42, s6, v41
	s_delay_alu instid0(VALU_DEP_1) | instskip(NEXT) | instid1(VALU_DEP_1)
	v_add_nc_u32_e32 v43, s6, v42
	v_add_nc_u32_e32 v45, s6, v43
	s_delay_alu instid0(VALU_DEP_1)
	v_dual_cndmask_b32 v7, 0, v7 :: v_dual_add_nc_u32 v46, s6, v45
	v_div_fixup_f64 v[10:11], v[20:21], v[12:13], 0x407c2000
	v_div_fixup_f64 v[12:13], v[22:23], v[18:19], 0x40180000
	s_and_b32 vcc_lo, s0, vcc_lo
	v_add_nc_u64_e32 v[20:21], s[16:17], v[4:5]
	v_cndmask_b32_e32 v6, 0, v6, vcc_lo
	s_and_b32 vcc_lo, s2, s1
	v_cndmask_b32_e64 v7, 0x3ff00000, v7, s0
	s_delay_alu instid0(VALU_DEP_4) | instskip(SKIP_2) | instid1(VALU_DEP_2)
	v_dual_cndmask_b32 v11, 0, v11, s1 :: v_dual_cndmask_b32 v13, 0, v13, s3
	v_cndmask_b32_e32 v8, 0, v10, vcc_lo
	s_and_b32 vcc_lo, s4, s3
	v_cndmask_b32_e64 v9, 0x407c2000, v11, s2
	s_delay_alu instid0(VALU_DEP_3)
	v_cndmask_b32_e64 v11, 0x40180000, v13, s4
	v_cndmask_b32_e32 v10, 0, v12, vcc_lo
	global_load_b64 v[12:13], v2, s[14:15] scale_offset
	s_wait_loadcnt 0x1
	v_add_f64_e64 v[6:7], v[6:7], -v[58:59]
	v_mul_f64_e32 v[8:9], v[8:9], v[10:11]
	s_wait_xcnt 0x0
	s_delay_alu instid0(VALU_DEP_1) | instskip(SKIP_2) | instid1(VALU_DEP_2)
	v_div_scale_f64 v[2:3], null, v[8:9], v[8:9], v[6:7]
	v_div_scale_f64 v[10:11], null, v[8:9], v[8:9], -1.0
	v_div_scale_f64 v[30:31], vcc_lo, v[6:7], v[8:9], v[6:7]
	v_rcp_f64_e32 v[18:19], v[10:11]
	v_nop
	s_delay_alu instid0(TRANS32_DEP_1) | instskip(NEXT) | instid1(VALU_DEP_1)
	v_fma_f64 v[24:25], -v[10:11], v[18:19], 1.0
	v_fmac_f64_e32 v[18:19], v[18:19], v[24:25]
	s_delay_alu instid0(VALU_DEP_1) | instskip(NEXT) | instid1(VALU_DEP_1)
	v_fma_f64 v[24:25], -v[10:11], v[18:19], 1.0
	v_fmac_f64_e32 v[18:19], v[18:19], v[24:25]
	s_wait_loadcnt 0x0
	scratch_store_b64 off, v[12:13], off offset:272 ; 8-byte Folded Spill
	global_load_b64 v[12:13], v[20:21], off
	s_wait_loadcnt 0x0
	scratch_store_b64 off, v[12:13], off offset:8 ; 8-byte Folded Spill
	s_wait_xcnt 0x0
	v_rcp_f64_e32 v[12:13], v[2:3]
	v_nop
	s_delay_alu instid0(TRANS32_DEP_1) | instskip(NEXT) | instid1(VALU_DEP_1)
	v_fma_f64 v[22:23], -v[2:3], v[12:13], 1.0
	v_fmac_f64_e32 v[12:13], v[12:13], v[22:23]
	s_delay_alu instid0(VALU_DEP_1) | instskip(NEXT) | instid1(VALU_DEP_1)
	v_fma_f64 v[22:23], -v[2:3], v[12:13], 1.0
	v_fmac_f64_e32 v[12:13], v[12:13], v[22:23]
	v_div_scale_f64 v[22:23], s0, -1.0, v[8:9], -1.0
	s_delay_alu instid0(VALU_DEP_2) | instskip(NEXT) | instid1(VALU_DEP_1)
	v_dual_mul_f64 v[24:25], v[30:31], v[12:13] :: v_dual_add_nc_u32 v47, s6, v46
	v_dual_fma_f64 v[2:3], -v[2:3], v[24:25], v[30:31] :: v_dual_add_nc_u32 v48, s6, v47
	s_delay_alu instid0(VALU_DEP_1) | instskip(NEXT) | instid1(VALU_DEP_1)
	v_dual_mul_f64 v[32:33], v[22:23], v[18:19] :: v_dual_add_nc_u32 v30, s6, v48
	v_add_nc_u32_e32 v31, s6, v30
	s_delay_alu instid0(VALU_DEP_1) | instskip(NEXT) | instid1(VALU_DEP_1)
	v_add_nc_u32_e32 v49, s6, v31
	v_add_nc_u32_e32 v50, s6, v49
	s_delay_alu instid0(VALU_DEP_1) | instskip(NEXT) | instid1(VALU_DEP_1)
	v_add_nc_u32_e32 v51, s6, v50
	v_add_nc_u32_e32 v52, s6, v51
	v_div_fmas_f64 v[12:13], v[2:3], v[12:13], v[24:25]
	s_mov_b32 vcc_lo, s0
	v_fma_f64 v[10:11], -v[10:11], v[32:33], v[22:23]
	global_load_b64 v[22:23], v17, s[14:15] scale_offset
	s_mov_b64 s[0:1], 0x3e45798ee2308c3a
	v_div_fixup_f64 v[6:7], v[12:13], v[8:9], v[6:7]
	v_div_fmas_f64 v[2:3], v[10:11], v[18:19], v[32:33]
	v_add_nc_u64_e32 v[10:11], s[14:15], v[14:15]
	global_load_b64 v[32:33], v27, s[14:15] scale_offset
	v_add_nc_u32_e32 v18, s6, v52
	v_add_nc_u64_e32 v[10:11], s[16:17], v[10:11]
	s_delay_alu instid0(VALU_DEP_2) | instskip(NEXT) | instid1(VALU_DEP_1)
	v_add_nc_u32_e32 v19, s6, v18
	v_add_nc_u32_e32 v14, s6, v19
	global_load_b64 v[10:11], v[10:11], off
	v_add_nc_u32_e32 v15, s6, v14
	s_delay_alu instid0(VALU_DEP_1) | instskip(SKIP_1) | instid1(VALU_DEP_1)
	v_add_nc_u32_e32 v24, s6, v15
	v_div_fixup_f64 v[2:3], v[2:3], v[8:9], -1.0
	v_cmp_ngt_f64_e64 s0, |v[2:3]|, s[0:1]
	s_wait_loadcnt 0x1
	scratch_store_b64 off, v[32:33], off offset:104 ; 8-byte Folded Spill
	global_load_b64 v[32:33], v29, s[14:15] scale_offset
	s_wait_loadcnt 0x0
	scratch_store_b64 off, v[32:33], off offset:360 ; 8-byte Folded Spill
	global_load_b64 v[32:33], v34, s[14:15] scale_offset
	;; [unrolled: 3-line block ×4, first 2 shown]
	scratch_store_b64 off, v[10:11], off offset:248 ; 8-byte Folded Spill
	s_wait_xcnt 0x0
	v_add_nc_u32_e32 v10, s6, v24
	s_delay_alu instid0(VALU_DEP_1) | instskip(NEXT) | instid1(VALU_DEP_1)
	v_add_nc_u32_e32 v11, s6, v10
	v_add_nc_u32_e32 v17, s6, v11
	s_delay_alu instid0(VALU_DEP_1) | instskip(NEXT) | instid1(VALU_DEP_1)
	v_add_nc_u32_e32 v25, s6, v17
	v_add_nc_u32_e32 v27, s6, v25
	s_delay_alu instid0(VALU_DEP_1)
	v_add_nc_u32_e32 v29, s6, v27
	s_wait_loadcnt 0x0
	scratch_store_b64 off, v[32:33], off offset:16 ; 8-byte Folded Spill
	global_load_b64 v[32:33], v37, s[14:15] scale_offset
	s_wait_loadcnt 0x0
	scratch_store_b64 off, v[32:33], off offset:344 ; 8-byte Folded Spill
	s_clause 0x2
	global_load_b64 v[62:63], v40, s[14:15] scale_offset
	global_load_b64 v[70:71], v41, s[14:15] scale_offset
	global_load_b64 v[32:33], v42, s[14:15] scale_offset
	s_wait_loadcnt 0x0
	scratch_store_b64 off, v[32:33], off offset:296 ; 8-byte Folded Spill
	global_load_b64 v[32:33], v43, s[14:15] scale_offset
	s_wait_loadcnt 0x0
	scratch_store_b64 off, v[32:33], off offset:368 ; 8-byte Folded Spill
	s_clause 0x1
	global_load_b64 v[118:119], v45, s[14:15] scale_offset
	global_load_b64 v[32:33], v46, s[14:15] scale_offset
	s_wait_loadcnt 0x0
	scratch_store_b64 off, v[32:33], off offset:304 ; 8-byte Folded Spill
	s_clause 0x5
	global_load_b64 v[104:105], v47, s[14:15] scale_offset
	global_load_b64 v[100:101], v48, s[14:15] scale_offset
	global_load_b64 v[102:103], v30, s[14:15] scale_offset
	global_load_b64 v[30:31], v31, s[14:15] scale_offset
	global_load_b64 v[126:127], v49, s[14:15] scale_offset
	global_load_b64 v[32:33], v50, s[14:15] scale_offset
	s_wait_loadcnt 0x0
	scratch_store_b64 off, v[32:33], off offset:328 ; 8-byte Folded Spill
	s_clause 0x1
	global_load_b64 v[110:111], v51, s[14:15] scale_offset
	global_load_b64 v[32:33], v52, s[14:15] scale_offset
	s_wait_loadcnt 0x0
	scratch_store_b64 off, v[32:33], off offset:320 ; 8-byte Folded Spill
	s_clause 0x1
	global_load_b64 v[32:33], v18, s[14:15] scale_offset
	global_load_b64 v[18:19], v19, s[14:15] scale_offset
	s_wait_loadcnt 0x1
	scratch_store_b64 off, v[32:33], off offset:336 ; 8-byte Folded Spill
	s_wait_loadcnt 0x0
	scratch_store_b64 off, v[18:19], off offset:352 ; 8-byte Folded Spill
	s_clause 0x1
	global_load_b64 v[80:81], v14, s[14:15] scale_offset
	global_load_b64 v[14:15], v15, s[14:15] scale_offset
	s_wait_loadcnt 0x0
	scratch_store_b64 off, v[14:15], off    ; 8-byte Folded Spill
	s_clause 0x3
	global_load_b64 v[18:19], v24, s[14:15] scale_offset
	global_load_b64 v[32:33], v10, s[14:15] scale_offset
	;; [unrolled: 1-line block ×4, first 2 shown]
	v_add_nc_u32_e32 v14, s6, v29
	s_delay_alu instid0(VALU_DEP_1)
	v_add_nc_u32_e32 v8, s6, v14
	s_wait_loadcnt 0x2
	scratch_store_b64 off, v[32:33], off offset:88 ; 8-byte Folded Spill
	s_wait_loadcnt 0x1
	scratch_store_b64 off, v[10:11], off offset:96 ; 8-byte Folded Spill
	global_load_b64 v[10:11], v25, s[14:15] scale_offset
	s_wait_loadcnt 0x0
	scratch_store_b64 off, v[10:11], off offset:216 ; 8-byte Folded Spill
	global_load_b64 v[10:11], v27, s[14:15] scale_offset
	;; [unrolled: 3-line block ×5, first 2 shown]
	s_clause 0x1
	global_load_b64 v[40:41], v44, s[8:9] scale_offset
	global_load_b64 v[8:9], v44, s[14:15] scale_offset
	s_wait_loadcnt 0x0
	scratch_store_b64 off, v[8:9], off offset:256 ; 8-byte Folded Spill
	s_clause 0x1
	global_load_b64 v[90:91], v106, s[8:9] scale_offset
	global_load_b64 v[8:9], v106, s[14:15] scale_offset
	s_wait_loadcnt 0x0
	scratch_store_b64 off, v[8:9], off offset:168 ; 8-byte Folded Spill
	;; [unrolled: 5-line block ×3, first 2 shown]
	s_clause 0x1
	global_load_b64 v[48:49], v94, s[8:9] scale_offset
	global_load_b64 v[50:51], v94, s[14:15] scale_offset
	;; [unrolled: 1-line block ×3, first 2 shown]
	s_wait_loadcnt 0x0
	scratch_store_b64 off, v[8:9], off offset:24 ; 8-byte Folded Spill
	global_load_b64 v[8:9], v78, s[14:15] scale_offset
	s_wait_loadcnt 0x0
	scratch_store_b64 off, v[8:9], off offset:152 ; 8-byte Folded Spill
	global_load_b64 v[8:9], v64, s[8:9] scale_offset
	;; [unrolled: 3-line block ×7, first 2 shown]
	s_wait_loadcnt 0x0
	scratch_store_b64 off, v[8:9], off offset:200 ; 8-byte Folded Spill
	s_clause 0x1
	global_load_b64 v[34:35], v66, s[8:9] scale_offset
	global_load_b64 v[8:9], v66, s[14:15] scale_offset
	s_wait_loadcnt 0x0
	scratch_store_b64 off, v[8:9], off offset:208 ; 8-byte Folded Spill
	global_load_b64 v[8:9], v98, s[8:9] scale_offset
	s_wait_loadcnt 0x0
	scratch_store_b64 off, v[8:9], off offset:80 ; 8-byte Folded Spill
	;; [unrolled: 3-line block ×3, first 2 shown]
	s_clause 0x1
	global_load_b64 v[36:37], v124, s[8:9] scale_offset
	global_load_b64 v[8:9], v124, s[14:15] scale_offset
	s_wait_loadcnt 0x0
	scratch_store_b64 off, v[8:9], off offset:128 ; 8-byte Folded Spill
	s_clause 0x1
	global_load_b64 v[114:115], v122, s[8:9] scale_offset
	global_load_b64 v[88:89], v122, s[14:15] scale_offset
	s_clause 0x1
	global_load_b64 v[116:117], v112, s[8:9] scale_offset
	global_load_b64 v[8:9], v112, s[14:15] scale_offset
	s_wait_loadcnt 0x0
	scratch_store_b64 off, v[8:9], off offset:64 ; 8-byte Folded Spill
	s_clause 0x1
	global_load_b64 v[56:57], v92, s[8:9] scale_offset
	global_load_b64 v[8:9], v92, s[14:15] scale_offset
	s_wait_loadcnt 0x0
	scratch_store_b64 off, v[8:9], off offset:384 ; 8-byte Folded Spill
	global_load_b64 v[8:9], v82, s[8:9] scale_offset
	s_wait_loadcnt 0x0
	scratch_store_b64 off, v[8:9], off offset:72 ; 8-byte Folded Spill
	;; [unrolled: 3-line block ×4, first 2 shown]
	s_wait_xcnt 0x0
	v_mov_b32_e32 v8, v54
	scratch_store_b64 off, v[8:9], off offset:160 ; 8-byte Folded Spill
	global_load_b64 v[8:9], v54, s[14:15] scale_offset
	s_wait_loadcnt 0x0
	scratch_store_b64 off, v[8:9], off offset:376 ; 8-byte Folded Spill
                                        ; implicit-def: $vgpr8_vgpr9
	s_wait_xcnt 0x0
	s_and_saveexec_b32 s1, s0
	s_delay_alu instid0(SALU_CYCLE_1)
	s_xor_b32 s0, exec_lo, s1
; %bb.2:
	v_mul_f64_e32 v[8:9], s[12:13], v[6:7]
                                        ; implicit-def: $vgpr2_vgpr3
                                        ; implicit-def: $vgpr6_vgpr7
; %bb.3:
	s_and_not1_saveexec_b32 s1, s0
	s_cbranch_execz .LBB0_5
; %bb.4:
	v_mul_f64_e32 v[8:9], s[12:13], v[2:3]
	s_mov_b64 s[2:3], 0x3e5ade156a5dcb37
	s_delay_alu instid0(VALU_DEP_1) | instskip(SKIP_2) | instid1(VALU_DEP_3)
	v_mul_f64_e32 v[12:13], 0x3ff71547652b82fe, v[8:9]
	v_cmp_nlt_f64_e32 vcc_lo, 0x40900000, v[8:9]
	v_cmp_ngt_f64_e64 s0, 0xc090cc00, v[8:9]
	v_rndne_f64_e32 v[12:13], v[12:13]
	s_delay_alu instid0(VALU_DEP_1) | instskip(SKIP_1) | instid1(VALU_DEP_2)
	v_fmamk_f64 v[14:15], v[12:13], 0xbfe62e42fefa39ef, v[8:9]
	v_cvt_i32_f64_e32 v10, v[12:13]
	v_fmamk_f64 v[14:15], v[12:13], 0xbc7abc9e3b39803f, v[14:15]
	s_delay_alu instid0(VALU_DEP_1) | instskip(NEXT) | instid1(VALU_DEP_1)
	v_fmaak_f64 v[24:25], s[2:3], v[14:15], 0x3e928af3fca7ab0c
	v_fmaak_f64 v[24:25], v[14:15], v[24:25], 0x3ec71dee623fde64
	s_delay_alu instid0(VALU_DEP_1) | instskip(NEXT) | instid1(VALU_DEP_1)
	v_fmaak_f64 v[24:25], v[14:15], v[24:25], 0x3efa01997c89e6b0
	v_fmaak_f64 v[24:25], v[14:15], v[24:25], 0x3f2a01a014761f6e
	s_delay_alu instid0(VALU_DEP_1) | instskip(NEXT) | instid1(VALU_DEP_1)
	v_fmaak_f64 v[24:25], v[14:15], v[24:25], 0x3f56c16c1852b7b0
	v_fmaak_f64 v[24:25], v[14:15], v[24:25], 0x3f81111111122322
	s_delay_alu instid0(VALU_DEP_1) | instskip(NEXT) | instid1(VALU_DEP_1)
	v_fmaak_f64 v[24:25], v[14:15], v[24:25], 0x3fa55555555502a1
	v_fmaak_f64 v[24:25], v[14:15], v[24:25], 0x3fc5555555555511
	s_delay_alu instid0(VALU_DEP_1) | instskip(NEXT) | instid1(VALU_DEP_1)
	v_fmaak_f64 v[24:25], v[14:15], v[24:25], 0x3fe000000000000b
	v_fma_f64 v[24:25], v[14:15], v[24:25], 1.0
	s_delay_alu instid0(VALU_DEP_1) | instskip(NEXT) | instid1(VALU_DEP_1)
	v_fma_f64 v[12:13], v[14:15], v[24:25], 1.0
	v_ldexp_f64 v[12:13], v[12:13], v10
	s_delay_alu instid0(VALU_DEP_1) | instskip(NEXT) | instid1(VALU_DEP_1)
	v_add_f64_e32 v[12:13], -1.0, v[12:13]
	v_cndmask_b32_e32 v10, 0x7ff00000, v13, vcc_lo
	s_and_b32 vcc_lo, s0, vcc_lo
	s_delay_alu instid0(VALU_DEP_2) | instskip(NEXT) | instid1(VALU_DEP_2)
	v_cndmask_b32_e32 v8, 0, v12, vcc_lo
	v_cndmask_b32_e64 v9, 0xbff00000, v10, s0
	s_delay_alu instid0(VALU_DEP_1) | instskip(NEXT) | instid1(VALU_DEP_1)
	v_mul_f64_e32 v[6:7], v[6:7], v[8:9]
	v_div_scale_f64 v[8:9], null, v[2:3], v[2:3], v[6:7]
	s_delay_alu instid0(VALU_DEP_1) | instskip(SKIP_1) | instid1(TRANS32_DEP_1)
	v_rcp_f64_e32 v[12:13], v[8:9]
	v_nop
	v_fma_f64 v[14:15], -v[8:9], v[12:13], 1.0
	s_delay_alu instid0(VALU_DEP_1) | instskip(NEXT) | instid1(VALU_DEP_1)
	v_fmac_f64_e32 v[12:13], v[12:13], v[14:15]
	v_fma_f64 v[14:15], -v[8:9], v[12:13], 1.0
	s_delay_alu instid0(VALU_DEP_1) | instskip(SKIP_1) | instid1(VALU_DEP_1)
	v_fmac_f64_e32 v[12:13], v[12:13], v[14:15]
	v_div_scale_f64 v[14:15], vcc_lo, v[6:7], v[2:3], v[6:7]
	v_mul_f64_e32 v[24:25], v[14:15], v[12:13]
	s_delay_alu instid0(VALU_DEP_1) | instskip(NEXT) | instid1(VALU_DEP_1)
	v_fma_f64 v[8:9], -v[8:9], v[24:25], v[14:15]
	v_div_fmas_f64 v[8:9], v[8:9], v[12:13], v[24:25]
	s_delay_alu instid0(VALU_DEP_1)
	v_div_fixup_f64 v[8:9], v[8:9], v[2:3], v[6:7]
.LBB0_5:
	s_or_b32 exec_lo, exec_lo, s1
	s_delay_alu instid0(VALU_DEP_1)
	v_add_f64_e32 v[2:3], v[58:59], v[8:9]
	scratch_store_b64 off, v[58:59], off offset:184 ; 8-byte Folded Spill
	v_mov_b64_e32 v[54:55], 0x3e928af3fca7ab0c
	v_mov_b64_e32 v[12:13], 0x3efa01997c89e6b0
	;; [unrolled: 1-line block ×6, first 2 shown]
	global_store_b64 v[4:5], v[2:3], off
	s_wait_xcnt 0x0
	v_div_scale_f64 v[2:3], null, 0x40380000, 0x40380000, v[0:1]
	s_delay_alu instid0(VALU_DEP_1) | instskip(SKIP_1) | instid1(TRANS32_DEP_1)
	v_rcp_f64_e32 v[4:5], v[2:3]
	v_nop
	v_fma_f64 v[6:7], -v[2:3], v[4:5], 1.0
	s_delay_alu instid0(VALU_DEP_1) | instskip(NEXT) | instid1(VALU_DEP_1)
	v_fmac_f64_e32 v[4:5], v[4:5], v[6:7]
	v_fma_f64 v[6:7], -v[2:3], v[4:5], 1.0
	s_delay_alu instid0(VALU_DEP_1) | instskip(SKIP_1) | instid1(VALU_DEP_1)
	v_fmac_f64_e32 v[4:5], v[4:5], v[6:7]
	v_div_scale_f64 v[6:7], vcc_lo, v[0:1], 0x40380000, v[0:1]
	v_mul_f64_e32 v[8:9], v[6:7], v[4:5]
	s_delay_alu instid0(VALU_DEP_1) | instskip(SKIP_1) | instid1(VALU_DEP_2)
	v_fma_f64 v[2:3], -v[2:3], v[8:9], v[6:7]
	v_mov_b64_e32 v[6:7], 0x3fc5555555555511
	v_div_fmas_f64 v[2:3], v[2:3], v[4:5], v[8:9]
	v_mov_b64_e32 v[8:9], 0x3ec71dee623fde64
	s_delay_alu instid0(VALU_DEP_2) | instskip(NEXT) | instid1(VALU_DEP_1)
	v_div_fixup_f64 v[2:3], v[2:3], 0x40380000, v[0:1]
	v_add_f64_e32 v[2:3], 0x400d555555555555, v[2:3]
	s_delay_alu instid0(VALU_DEP_1) | instskip(SKIP_1) | instid1(VALU_DEP_2)
	v_mul_f64_e32 v[4:5], 0x3ff71547652b82fe, v[2:3]
	v_cmp_ngt_f64_e64 s0, 0xc090cc00, v[2:3]
	v_rndne_f64_e32 v[58:59], v[4:5]
	s_delay_alu instid0(VALU_DEP_1) | instskip(SKIP_1) | instid1(VALU_DEP_2)
	v_fmamk_f64 v[60:61], v[58:59], 0xbfe62e42fefa39ef, v[2:3]
	v_cvt_i32_f64_e32 v10, v[58:59]
	v_fmac_f64_e32 v[60:61], 0xbc7abc9e3b39803f, v[58:59]
	s_delay_alu instid0(VALU_DEP_1) | instskip(NEXT) | instid1(VALU_DEP_1)
	v_fmamk_f64 v[4:5], v[60:61], 0x3e5ade156a5dcb37, v[54:55]
	v_fmaak_f64 v[4:5], v[60:61], v[4:5], 0x3ec71dee623fde64
	s_delay_alu instid0(VALU_DEP_1) | instskip(NEXT) | instid1(VALU_DEP_1)
	v_fmaak_f64 v[4:5], v[60:61], v[4:5], 0x3efa01997c89e6b0
	v_fmaak_f64 v[4:5], v[60:61], v[4:5], 0x3f2a01a014761f6e
	s_delay_alu instid0(VALU_DEP_1) | instskip(NEXT) | instid1(VALU_DEP_1)
	v_fmaak_f64 v[4:5], v[60:61], v[4:5], 0x3f56c16c1852b7b0
	;; [unrolled: 3-line block ×3, first 2 shown]
	v_fmaak_f64 v[68:69], v[60:61], v[4:5], 0x3fc5555555555511
	v_mov_b64_e32 v[4:5], 0x3fe000000000000b
	s_delay_alu instid0(VALU_DEP_2) | instskip(NEXT) | instid1(VALU_DEP_1)
	v_fmaak_f64 v[68:69], v[60:61], v[68:69], 0x3fe000000000000b
	v_fma_f64 v[68:69], v[60:61], v[68:69], 1.0
	s_delay_alu instid0(VALU_DEP_1) | instskip(NEXT) | instid1(VALU_DEP_1)
	v_fma_f64 v[60:61], v[60:61], v[68:69], 1.0
	v_ldexp_f64 v[58:59], v[60:61], v10
	s_delay_alu instid0(VALU_DEP_1) | instskip(NEXT) | instid1(VALU_DEP_1)
	v_add_f64_e32 v[58:59], 1.0, v[58:59]
	v_div_scale_f64 v[60:61], null, v[58:59], v[58:59], 1.0
	s_delay_alu instid0(VALU_DEP_1) | instskip(SKIP_1) | instid1(TRANS32_DEP_1)
	v_rcp_f64_e32 v[68:69], v[60:61]
	v_nop
	v_fma_f64 v[76:77], -v[60:61], v[68:69], 1.0
	s_delay_alu instid0(VALU_DEP_1) | instskip(NEXT) | instid1(VALU_DEP_1)
	v_fmac_f64_e32 v[68:69], v[68:69], v[76:77]
	v_fma_f64 v[76:77], -v[60:61], v[68:69], 1.0
	s_delay_alu instid0(VALU_DEP_1) | instskip(SKIP_1) | instid1(VALU_DEP_1)
	v_fmac_f64_e32 v[68:69], v[68:69], v[76:77]
	v_div_scale_f64 v[76:77], vcc_lo, 1.0, v[58:59], 1.0
	v_mul_f64_e32 v[96:97], v[76:77], v[68:69]
	s_delay_alu instid0(VALU_DEP_1) | instskip(NEXT) | instid1(VALU_DEP_1)
	v_fma_f64 v[60:61], -v[60:61], v[96:97], v[76:77]
	v_div_fmas_f64 v[60:61], v[60:61], v[68:69], v[96:97]
	v_cmp_nlt_f64_e32 vcc_lo, 0x40900000, v[2:3]
	s_delay_alu instid0(VALU_DEP_2) | instskip(NEXT) | instid1(VALU_DEP_1)
	v_div_fixup_f64 v[58:59], v[60:61], v[58:59], 1.0
	v_cndmask_b32_e32 v10, 0, v59, vcc_lo
	s_and_b32 vcc_lo, s0, vcc_lo
	s_delay_alu instid0(VALU_DEP_2) | instskip(SKIP_1) | instid1(VALU_DEP_3)
	v_cndmask_b32_e32 v2, 0, v58, vcc_lo
	v_div_scale_f64 v[58:59], null, 0x40340000, 0x40340000, v[0:1]
	v_cndmask_b32_e64 v3, 0x3ff00000, v10, s0
	s_delay_alu instid0(VALU_DEP_2) | instskip(SKIP_1) | instid1(TRANS32_DEP_1)
	v_rcp_f64_e32 v[60:61], v[58:59]
	v_nop
	v_fma_f64 v[68:69], -v[58:59], v[60:61], 1.0
	s_delay_alu instid0(VALU_DEP_1) | instskip(NEXT) | instid1(VALU_DEP_1)
	v_fmac_f64_e32 v[60:61], v[60:61], v[68:69]
	v_fma_f64 v[68:69], -v[58:59], v[60:61], 1.0
	s_delay_alu instid0(VALU_DEP_1) | instskip(SKIP_1) | instid1(VALU_DEP_1)
	v_fmac_f64_e32 v[60:61], v[60:61], v[68:69]
	v_div_scale_f64 v[68:69], vcc_lo, v[0:1], 0x40340000, v[0:1]
	v_mul_f64_e32 v[76:77], v[68:69], v[60:61]
	s_delay_alu instid0(VALU_DEP_1) | instskip(NEXT) | instid1(VALU_DEP_1)
	v_fma_f64 v[58:59], -v[58:59], v[76:77], v[68:69]
	v_div_fmas_f64 v[58:59], v[58:59], v[60:61], v[76:77]
	s_delay_alu instid0(VALU_DEP_1) | instskip(NEXT) | instid1(VALU_DEP_1)
	v_div_fixup_f64 v[96:97], v[58:59], 0x40340000, v[0:1]
	v_add_f64_e64 v[58:59], 0xc0080000, -v[96:97]
	s_delay_alu instid0(VALU_DEP_1) | instskip(SKIP_1) | instid1(VALU_DEP_2)
	v_mul_f64_e32 v[60:61], 0x3ff71547652b82fe, v[58:59]
	v_cmp_ngt_f64_e64 s0, 0xc090cc00, v[58:59]
	v_rndne_f64_e32 v[60:61], v[60:61]
	s_delay_alu instid0(VALU_DEP_1) | instskip(SKIP_1) | instid1(VALU_DEP_2)
	v_fmamk_f64 v[68:69], v[60:61], 0xbfe62e42fefa39ef, v[58:59]
	v_cvt_i32_f64_e32 v10, v[60:61]
	v_fmac_f64_e32 v[68:69], 0xbc7abc9e3b39803f, v[60:61]
	s_delay_alu instid0(VALU_DEP_1) | instskip(NEXT) | instid1(VALU_DEP_1)
	v_fmamk_f64 v[76:77], v[68:69], 0x3e5ade156a5dcb37, v[54:55]
	v_fmaak_f64 v[76:77], v[68:69], v[76:77], 0x3ec71dee623fde64
	s_delay_alu instid0(VALU_DEP_1) | instskip(NEXT) | instid1(VALU_DEP_1)
	v_fmaak_f64 v[76:77], v[68:69], v[76:77], 0x3efa01997c89e6b0
	v_fmaak_f64 v[76:77], v[68:69], v[76:77], 0x3f2a01a014761f6e
	s_delay_alu instid0(VALU_DEP_1) | instskip(NEXT) | instid1(VALU_DEP_1)
	v_fmaak_f64 v[76:77], v[68:69], v[76:77], 0x3f56c16c1852b7b0
	;; [unrolled: 3-line block ×4, first 2 shown]
	v_fma_f64 v[76:77], v[68:69], v[76:77], 1.0
	s_delay_alu instid0(VALU_DEP_1) | instskip(NEXT) | instid1(VALU_DEP_1)
	v_fma_f64 v[68:69], v[68:69], v[76:77], 1.0
	v_ldexp_f64 v[60:61], v[68:69], v10
	s_delay_alu instid0(VALU_DEP_1) | instskip(NEXT) | instid1(VALU_DEP_1)
	v_add_f64_e32 v[60:61], 1.0, v[60:61]
	v_div_scale_f64 v[68:69], null, v[60:61], v[60:61], 0x40080000
	s_delay_alu instid0(VALU_DEP_1) | instskip(SKIP_1) | instid1(TRANS32_DEP_1)
	v_rcp_f64_e32 v[76:77], v[68:69]
	v_nop
	v_fma_f64 v[120:121], -v[68:69], v[76:77], 1.0
	s_delay_alu instid0(VALU_DEP_1) | instskip(NEXT) | instid1(VALU_DEP_1)
	v_fmac_f64_e32 v[76:77], v[76:77], v[120:121]
	v_fma_f64 v[120:121], -v[68:69], v[76:77], 1.0
	s_delay_alu instid0(VALU_DEP_1) | instskip(SKIP_1) | instid1(VALU_DEP_1)
	v_fmac_f64_e32 v[76:77], v[76:77], v[120:121]
	v_div_scale_f64 v[120:121], vcc_lo, 0x40080000, v[60:61], 0x40080000
	v_mul_f64_e32 v[42:43], v[120:121], v[76:77]
	s_delay_alu instid0(VALU_DEP_1) | instskip(NEXT) | instid1(VALU_DEP_1)
	v_fma_f64 v[68:69], -v[68:69], v[42:43], v[120:121]
	v_div_fmas_f64 v[42:43], v[68:69], v[76:77], v[42:43]
	v_cmp_nlt_f64_e32 vcc_lo, 0x40900000, v[58:59]
	s_delay_alu instid0(VALU_DEP_2) | instskip(SKIP_1) | instid1(VALU_DEP_2)
	v_div_fixup_f64 v[42:43], v[42:43], v[60:61], 0x40080000
	v_add_f64_e32 v[60:61], 0xc0080000, v[96:97]
	v_cndmask_b32_e32 v10, 0, v43, vcc_lo
	s_and_b32 vcc_lo, s0, vcc_lo
	s_delay_alu instid0(VALU_DEP_3) | instskip(NEXT) | instid1(VALU_DEP_3)
	v_cndmask_b32_e32 v58, 0, v42, vcc_lo
	v_mul_f64_e32 v[42:43], 0x3ff71547652b82fe, v[60:61]
	s_delay_alu instid0(VALU_DEP_3) | instskip(SKIP_1) | instid1(VALU_DEP_2)
	v_cndmask_b32_e64 v59, 0x40080000, v10, s0
	s_mov_b64 s[0:1], 0x3ff1eb851eb851ec
	v_rndne_f64_e32 v[42:43], v[42:43]
	s_delay_alu instid0(VALU_DEP_1) | instskip(NEXT) | instid1(VALU_DEP_1)
	v_fmamk_f64 v[68:69], v[42:43], 0xbfe62e42fefa39ef, v[60:61]
	v_fmac_f64_e32 v[68:69], 0xbc7abc9e3b39803f, v[42:43]
	s_delay_alu instid0(VALU_DEP_1) | instskip(NEXT) | instid1(VALU_DEP_1)
	v_fmac_f64_e32 v[54:55], 0x3e5ade156a5dcb37, v[68:69]
	v_fmac_f64_e32 v[8:9], v[68:69], v[54:55]
	s_delay_alu instid0(VALU_DEP_1) | instskip(NEXT) | instid1(VALU_DEP_1)
	v_fmac_f64_e32 v[12:13], v[68:69], v[8:9]
	;; [unrolled: 3-line block ×4, first 2 shown]
	v_fmac_f64_e32 v[6:7], v[68:69], v[46:47]
	s_delay_alu instid0(VALU_DEP_1) | instskip(SKIP_1) | instid1(VALU_DEP_2)
	v_fmac_f64_e32 v[4:5], v[68:69], v[6:7]
	v_cvt_i32_f64_e32 v6, v[42:43]
	v_fma_f64 v[4:5], v[68:69], v[4:5], 1.0
	s_delay_alu instid0(VALU_DEP_1) | instskip(NEXT) | instid1(VALU_DEP_1)
	v_fma_f64 v[4:5], v[68:69], v[4:5], 1.0
	v_ldexp_f64 v[4:5], v[4:5], v6
	s_delay_alu instid0(VALU_DEP_1) | instskip(NEXT) | instid1(VALU_DEP_1)
	v_add_f64_e32 v[4:5], 1.0, v[4:5]
	v_div_scale_f64 v[6:7], null, v[4:5], v[4:5], s[0:1]
	s_delay_alu instid0(VALU_DEP_1) | instskip(SKIP_1) | instid1(TRANS32_DEP_1)
	v_rcp_f64_e32 v[8:9], v[6:7]
	v_nop
	v_fma_f64 v[12:13], -v[6:7], v[8:9], 1.0
	s_delay_alu instid0(VALU_DEP_1) | instskip(NEXT) | instid1(VALU_DEP_1)
	v_fmac_f64_e32 v[8:9], v[8:9], v[12:13]
	v_fma_f64 v[12:13], -v[6:7], v[8:9], 1.0
	s_delay_alu instid0(VALU_DEP_1) | instskip(SKIP_1) | instid1(VALU_DEP_1)
	v_fmac_f64_e32 v[8:9], v[8:9], v[12:13]
	v_div_scale_f64 v[12:13], vcc_lo, s[0:1], v[4:5], s[0:1]
	v_mul_f64_e32 v[14:15], v[12:13], v[8:9]
	s_delay_alu instid0(VALU_DEP_1) | instskip(NEXT) | instid1(VALU_DEP_1)
	v_fma_f64 v[6:7], -v[6:7], v[14:15], v[12:13]
	v_div_fmas_f64 v[6:7], v[6:7], v[8:9], v[14:15]
	v_cmp_nlt_f64_e32 vcc_lo, 0x40900000, v[60:61]
	s_delay_alu instid0(VALU_DEP_2) | instskip(SKIP_4) | instid1(VALU_DEP_2)
	v_div_fixup_f64 v[4:5], v[6:7], v[4:5], s[0:1]
	scratch_load_b64 v[6:7], off, off offset:8 ; 8-byte Folded Reload
	s_mov_b64 s[0:1], 0x3e45798ee2308c3a
	v_dual_cndmask_b32 v4, 0, v4 :: v_dual_cndmask_b32 v5, 0, v5
	v_cmp_ngt_f64_e32 vcc_lo, 0xc090cc00, v[60:61]
	v_cndmask_b32_e32 v5, 0x3ff1eb85, v5, vcc_lo
	s_delay_alu instid0(VALU_DEP_3) | instskip(NEXT) | instid1(VALU_DEP_1)
	v_cndmask_b32_e32 v4, 0x1eb851ec, v4, vcc_lo
	v_mul_f64_e32 v[4:5], v[58:59], v[4:5]
	s_wait_loadcnt 0x0
	v_add_f64_e64 v[2:3], v[2:3], -v[6:7]
	s_delay_alu instid0(VALU_DEP_1) | instskip(NEXT) | instid1(VALU_DEP_1)
	v_div_scale_f64 v[6:7], null, v[4:5], v[4:5], v[2:3]
	v_rcp_f64_e32 v[8:9], v[6:7]
	v_nop
	s_delay_alu instid0(TRANS32_DEP_1) | instskip(NEXT) | instid1(VALU_DEP_1)
	v_fma_f64 v[12:13], -v[6:7], v[8:9], 1.0
	v_fmac_f64_e32 v[8:9], v[8:9], v[12:13]
	s_delay_alu instid0(VALU_DEP_1) | instskip(NEXT) | instid1(VALU_DEP_1)
	v_fma_f64 v[12:13], -v[6:7], v[8:9], 1.0
	v_fmac_f64_e32 v[8:9], v[8:9], v[12:13]
	v_div_scale_f64 v[12:13], vcc_lo, v[2:3], v[4:5], v[2:3]
	s_delay_alu instid0(VALU_DEP_1) | instskip(NEXT) | instid1(VALU_DEP_1)
	v_mul_f64_e32 v[14:15], v[12:13], v[8:9]
	v_fma_f64 v[6:7], -v[6:7], v[14:15], v[12:13]
	s_delay_alu instid0(VALU_DEP_1) | instskip(NEXT) | instid1(VALU_DEP_1)
	v_div_fmas_f64 v[6:7], v[6:7], v[8:9], v[14:15]
	v_div_fixup_f64 v[2:3], v[6:7], v[4:5], v[2:3]
	v_div_scale_f64 v[6:7], null, v[4:5], v[4:5], -1.0
	s_delay_alu instid0(VALU_DEP_1) | instskip(SKIP_1) | instid1(TRANS32_DEP_1)
	v_rcp_f64_e32 v[8:9], v[6:7]
	v_nop
	v_fma_f64 v[12:13], -v[6:7], v[8:9], 1.0
	s_delay_alu instid0(VALU_DEP_1) | instskip(NEXT) | instid1(VALU_DEP_1)
	v_fmac_f64_e32 v[8:9], v[8:9], v[12:13]
	v_fma_f64 v[12:13], -v[6:7], v[8:9], 1.0
	s_delay_alu instid0(VALU_DEP_1) | instskip(SKIP_1) | instid1(VALU_DEP_1)
	v_fmac_f64_e32 v[8:9], v[8:9], v[12:13]
	v_div_scale_f64 v[12:13], vcc_lo, -1.0, v[4:5], -1.0
	v_mul_f64_e32 v[14:15], v[12:13], v[8:9]
	s_delay_alu instid0(VALU_DEP_1) | instskip(NEXT) | instid1(VALU_DEP_1)
	v_fma_f64 v[6:7], -v[6:7], v[14:15], v[12:13]
	v_div_fmas_f64 v[6:7], v[6:7], v[8:9], v[14:15]
	s_delay_alu instid0(VALU_DEP_1) | instskip(NEXT) | instid1(VALU_DEP_1)
	v_div_fixup_f64 v[4:5], v[6:7], v[4:5], -1.0
                                        ; implicit-def: $vgpr6_vgpr7
	v_cmp_ngt_f64_e64 s0, |v[4:5]|, s[0:1]
	s_wait_xcnt 0x0
	s_and_saveexec_b32 s1, s0
	s_delay_alu instid0(SALU_CYCLE_1)
	s_xor_b32 s0, exec_lo, s1
; %bb.6:
	v_mul_f64_e32 v[6:7], s[12:13], v[2:3]
                                        ; implicit-def: $vgpr4_vgpr5
                                        ; implicit-def: $vgpr2_vgpr3
; %bb.7:
	s_or_saveexec_b32 s1, s0
	v_ashrrev_i32_e32 v45, 31, v44
	s_xor_b32 exec_lo, exec_lo, s1
	s_cbranch_execz .LBB0_9
; %bb.8:
	v_mul_f64_e32 v[6:7], s[12:13], v[4:5]
	s_mov_b64 s[2:3], 0x3e5ade156a5dcb37
	s_delay_alu instid0(VALU_DEP_1) | instskip(SKIP_2) | instid1(VALU_DEP_3)
	v_mul_f64_e32 v[8:9], 0x3ff71547652b82fe, v[6:7]
	v_cmp_nlt_f64_e32 vcc_lo, 0x40900000, v[6:7]
	v_cmp_ngt_f64_e64 s0, 0xc090cc00, v[6:7]
	v_rndne_f64_e32 v[8:9], v[8:9]
	s_delay_alu instid0(VALU_DEP_1) | instskip(SKIP_1) | instid1(VALU_DEP_2)
	v_fmamk_f64 v[12:13], v[8:9], 0xbfe62e42fefa39ef, v[6:7]
	v_cvt_i32_f64_e32 v10, v[8:9]
	v_fmamk_f64 v[12:13], v[8:9], 0xbc7abc9e3b39803f, v[12:13]
	s_delay_alu instid0(VALU_DEP_1) | instskip(NEXT) | instid1(VALU_DEP_1)
	v_fmaak_f64 v[14:15], s[2:3], v[12:13], 0x3e928af3fca7ab0c
	v_fmaak_f64 v[14:15], v[12:13], v[14:15], 0x3ec71dee623fde64
	s_delay_alu instid0(VALU_DEP_1) | instskip(NEXT) | instid1(VALU_DEP_1)
	v_fmaak_f64 v[14:15], v[12:13], v[14:15], 0x3efa01997c89e6b0
	v_fmaak_f64 v[14:15], v[12:13], v[14:15], 0x3f2a01a014761f6e
	;; [unrolled: 3-line block ×4, first 2 shown]
	s_delay_alu instid0(VALU_DEP_1) | instskip(NEXT) | instid1(VALU_DEP_1)
	v_fmaak_f64 v[14:15], v[12:13], v[14:15], 0x3fe000000000000b
	v_fma_f64 v[14:15], v[12:13], v[14:15], 1.0
	s_delay_alu instid0(VALU_DEP_1) | instskip(NEXT) | instid1(VALU_DEP_1)
	v_fma_f64 v[8:9], v[12:13], v[14:15], 1.0
	v_ldexp_f64 v[8:9], v[8:9], v10
	s_delay_alu instid0(VALU_DEP_1) | instskip(NEXT) | instid1(VALU_DEP_1)
	v_add_f64_e32 v[8:9], -1.0, v[8:9]
	v_cndmask_b32_e32 v9, 0x7ff00000, v9, vcc_lo
	s_and_b32 vcc_lo, s0, vcc_lo
	s_delay_alu instid0(VALU_DEP_2) | instskip(NEXT) | instid1(VALU_DEP_2)
	v_cndmask_b32_e32 v6, 0, v8, vcc_lo
	v_cndmask_b32_e64 v7, 0xbff00000, v9, s0
	s_delay_alu instid0(VALU_DEP_1) | instskip(NEXT) | instid1(VALU_DEP_1)
	v_mul_f64_e32 v[2:3], v[2:3], v[6:7]
	v_div_scale_f64 v[6:7], null, v[4:5], v[4:5], v[2:3]
	s_delay_alu instid0(VALU_DEP_1) | instskip(SKIP_1) | instid1(TRANS32_DEP_1)
	v_rcp_f64_e32 v[8:9], v[6:7]
	v_nop
	v_fma_f64 v[12:13], -v[6:7], v[8:9], 1.0
	s_delay_alu instid0(VALU_DEP_1) | instskip(NEXT) | instid1(VALU_DEP_1)
	v_fmac_f64_e32 v[8:9], v[8:9], v[12:13]
	v_fma_f64 v[12:13], -v[6:7], v[8:9], 1.0
	s_delay_alu instid0(VALU_DEP_1) | instskip(SKIP_1) | instid1(VALU_DEP_1)
	v_fmac_f64_e32 v[8:9], v[8:9], v[12:13]
	v_div_scale_f64 v[12:13], vcc_lo, v[2:3], v[4:5], v[2:3]
	v_mul_f64_e32 v[14:15], v[12:13], v[8:9]
	s_delay_alu instid0(VALU_DEP_1) | instskip(NEXT) | instid1(VALU_DEP_1)
	v_fma_f64 v[6:7], -v[6:7], v[14:15], v[12:13]
	v_div_fmas_f64 v[6:7], v[6:7], v[8:9], v[14:15]
	s_delay_alu instid0(VALU_DEP_1)
	v_div_fixup_f64 v[6:7], v[6:7], v[4:5], v[2:3]
.LBB0_9:
	s_or_b32 exec_lo, exec_lo, s1
	scratch_load_b64 v[2:3], off, off offset:8 ; 8-byte Folded Reload
	v_mov_b64_e32 v[46:47], 0x3e928af3fca7ab0c
	s_wait_loadcnt 0x0
	v_add_f64_e32 v[2:3], v[2:3], v[6:7]
	global_store_b64 v[20:21], v[2:3], off
	s_wait_xcnt 0x0
	v_div_scale_f64 v[2:3], null, 0xc02c0000, 0xc02c0000, v[0:1]
	s_delay_alu instid0(VALU_DEP_1) | instskip(SKIP_1) | instid1(TRANS32_DEP_1)
	v_rcp_f64_e32 v[4:5], v[2:3]
	v_nop
	v_fma_f64 v[6:7], -v[2:3], v[4:5], 1.0
	s_delay_alu instid0(VALU_DEP_1) | instskip(NEXT) | instid1(VALU_DEP_1)
	v_fmac_f64_e32 v[4:5], v[4:5], v[6:7]
	v_fma_f64 v[6:7], -v[2:3], v[4:5], 1.0
	s_delay_alu instid0(VALU_DEP_1) | instskip(SKIP_1) | instid1(VALU_DEP_1)
	v_fmac_f64_e32 v[4:5], v[4:5], v[6:7]
	v_div_scale_f64 v[6:7], vcc_lo, v[0:1], 0xc02c0000, v[0:1]
	v_mul_f64_e32 v[8:9], v[6:7], v[4:5]
	s_delay_alu instid0(VALU_DEP_1) | instskip(NEXT) | instid1(VALU_DEP_1)
	v_fma_f64 v[2:3], -v[2:3], v[8:9], v[6:7]
	v_div_fmas_f64 v[2:3], v[2:3], v[4:5], v[8:9]
	s_delay_alu instid0(VALU_DEP_1) | instskip(NEXT) | instid1(VALU_DEP_1)
	v_div_fixup_f64 v[2:3], v[2:3], 0xc02c0000, v[0:1]
	v_add_f64_e32 v[2:3], 0xbfd6db6db6db6db7, v[2:3]
	s_delay_alu instid0(VALU_DEP_1) | instskip(SKIP_1) | instid1(VALU_DEP_2)
	v_mul_f64_e32 v[4:5], 0x3ff71547652b82fe, v[2:3]
	v_cmp_ngt_f64_e64 s0, 0xc090cc00, v[2:3]
	v_rndne_f64_e32 v[24:25], v[4:5]
	v_mov_b64_e32 v[4:5], 0x3ec71dee623fde64
	s_delay_alu instid0(VALU_DEP_2) | instskip(SKIP_1) | instid1(VALU_DEP_2)
	v_fmamk_f64 v[42:43], v[24:25], 0xbfe62e42fefa39ef, v[2:3]
	v_cvt_i32_f64_e32 v10, v[24:25]
	v_fmac_f64_e32 v[42:43], 0xbc7abc9e3b39803f, v[24:25]
	s_delay_alu instid0(VALU_DEP_1) | instskip(NEXT) | instid1(VALU_DEP_1)
	v_fmamk_f64 v[6:7], v[42:43], 0x3e5ade156a5dcb37, v[46:47]
	v_fmaak_f64 v[8:9], v[42:43], v[6:7], 0x3ec71dee623fde64
	v_mov_b64_e32 v[6:7], 0x3efa01997c89e6b0
	s_delay_alu instid0(VALU_DEP_2) | instskip(SKIP_1) | instid1(VALU_DEP_2)
	v_fmaak_f64 v[12:13], v[42:43], v[8:9], 0x3efa01997c89e6b0
	v_mov_b64_e32 v[8:9], 0x3f2a01a014761f6e
	v_fmaak_f64 v[14:15], v[42:43], v[12:13], 0x3f2a01a014761f6e
	v_mov_b64_e32 v[12:13], 0x3f56c16c1852b7b0
	s_delay_alu instid0(VALU_DEP_2) | instskip(SKIP_1) | instid1(VALU_DEP_2)
	v_fmaak_f64 v[20:21], v[42:43], v[14:15], 0x3f56c16c1852b7b0
	v_mov_b64_e32 v[14:15], 0x3f81111111122322
	;; [unrolled: 5-line block ×3, first 2 shown]
	v_fmaak_f64 v[58:59], v[42:43], v[54:55], 0x3fc5555555555511
	v_mov_b64_e32 v[54:55], 0x3fe000000000000b
	s_delay_alu instid0(VALU_DEP_2) | instskip(NEXT) | instid1(VALU_DEP_1)
	v_fmaak_f64 v[58:59], v[42:43], v[58:59], 0x3fe000000000000b
	v_fma_f64 v[58:59], v[42:43], v[58:59], 1.0
	s_delay_alu instid0(VALU_DEP_1) | instskip(NEXT) | instid1(VALU_DEP_1)
	v_fma_f64 v[42:43], v[42:43], v[58:59], 1.0
	v_ldexp_f64 v[24:25], v[42:43], v10
	s_delay_alu instid0(VALU_DEP_1) | instskip(NEXT) | instid1(VALU_DEP_1)
	v_add_f64_e32 v[24:25], 1.0, v[24:25]
	v_div_scale_f64 v[42:43], null, v[24:25], v[24:25], 1.0
	s_delay_alu instid0(VALU_DEP_1) | instskip(SKIP_1) | instid1(TRANS32_DEP_1)
	v_rcp_f64_e32 v[58:59], v[42:43]
	v_nop
	v_fma_f64 v[60:61], -v[42:43], v[58:59], 1.0
	s_delay_alu instid0(VALU_DEP_1) | instskip(NEXT) | instid1(VALU_DEP_1)
	v_fmac_f64_e32 v[58:59], v[58:59], v[60:61]
	v_fma_f64 v[60:61], -v[42:43], v[58:59], 1.0
	s_delay_alu instid0(VALU_DEP_1) | instskip(SKIP_1) | instid1(VALU_DEP_1)
	v_fmac_f64_e32 v[58:59], v[58:59], v[60:61]
	v_div_scale_f64 v[60:61], vcc_lo, 1.0, v[24:25], 1.0
	v_mul_f64_e32 v[68:69], v[60:61], v[58:59]
	s_delay_alu instid0(VALU_DEP_1) | instskip(NEXT) | instid1(VALU_DEP_1)
	v_fma_f64 v[42:43], -v[42:43], v[68:69], v[60:61]
	v_div_fmas_f64 v[42:43], v[42:43], v[58:59], v[68:69]
	v_cmp_nlt_f64_e32 vcc_lo, 0x40900000, v[2:3]
	s_delay_alu instid0(VALU_DEP_2) | instskip(NEXT) | instid1(VALU_DEP_1)
	v_div_fixup_f64 v[24:25], v[42:43], v[24:25], 1.0
	v_cndmask_b32_e32 v10, 0, v25, vcc_lo
	s_and_b32 vcc_lo, s0, vcc_lo
	s_delay_alu instid0(VALU_DEP_2) | instskip(SKIP_1) | instid1(VALU_DEP_3)
	v_cndmask_b32_e32 v2, 0, v24, vcc_lo
	v_div_scale_f64 v[24:25], null, 0x40180000, 0x40180000, v[0:1]
	v_cndmask_b32_e64 v3, 0x3ff00000, v10, s0
	s_mov_b64 s[0:1], 0x3feaaaaaaaaaaaab
	s_delay_alu instid0(VALU_DEP_1) | instskip(NEXT) | instid1(VALU_DEP_3)
	v_add_f64_e64 v[2:3], v[2:3], -v[40:41]
	v_rcp_f64_e32 v[42:43], v[24:25]
	v_nop
	s_delay_alu instid0(TRANS32_DEP_1) | instskip(NEXT) | instid1(VALU_DEP_1)
	v_fma_f64 v[58:59], -v[24:25], v[42:43], 1.0
	v_fmac_f64_e32 v[42:43], v[42:43], v[58:59]
	s_delay_alu instid0(VALU_DEP_1) | instskip(NEXT) | instid1(VALU_DEP_1)
	v_fma_f64 v[58:59], -v[24:25], v[42:43], 1.0
	v_fmac_f64_e32 v[42:43], v[42:43], v[58:59]
	v_div_scale_f64 v[58:59], vcc_lo, v[0:1], 0x40180000, v[0:1]
	s_delay_alu instid0(VALU_DEP_1) | instskip(NEXT) | instid1(VALU_DEP_1)
	v_mul_f64_e32 v[60:61], v[58:59], v[42:43]
	v_fma_f64 v[24:25], -v[24:25], v[60:61], v[58:59]
	s_delay_alu instid0(VALU_DEP_1) | instskip(NEXT) | instid1(VALU_DEP_1)
	v_div_fmas_f64 v[24:25], v[24:25], v[42:43], v[60:61]
	v_div_fixup_f64 v[24:25], v[24:25], 0x40180000, v[0:1]
	s_delay_alu instid0(VALU_DEP_1) | instskip(NEXT) | instid1(VALU_DEP_1)
	v_add_f64_e64 v[42:43], -v[24:25], s[0:1]
	v_mul_f64_e32 v[58:59], 0x3ff71547652b82fe, v[42:43]
	v_cmp_nlt_f64_e32 vcc_lo, 0x40900000, v[42:43]
	s_delay_alu instid0(VALU_DEP_2) | instskip(NEXT) | instid1(VALU_DEP_1)
	v_rndne_f64_e32 v[58:59], v[58:59]
	v_fmamk_f64 v[60:61], v[58:59], 0xbfe62e42fefa39ef, v[42:43]
	v_cvt_i32_f64_e32 v10, v[58:59]
	s_delay_alu instid0(VALU_DEP_2) | instskip(NEXT) | instid1(VALU_DEP_1)
	v_fmac_f64_e32 v[60:61], 0xbc7abc9e3b39803f, v[58:59]
	v_fmamk_f64 v[68:69], v[60:61], 0x3e5ade156a5dcb37, v[46:47]
	s_delay_alu instid0(VALU_DEP_1) | instskip(NEXT) | instid1(VALU_DEP_1)
	v_fmaak_f64 v[68:69], v[60:61], v[68:69], 0x3ec71dee623fde64
	v_fmaak_f64 v[68:69], v[60:61], v[68:69], 0x3efa01997c89e6b0
	s_delay_alu instid0(VALU_DEP_1) | instskip(NEXT) | instid1(VALU_DEP_1)
	v_fmaak_f64 v[68:69], v[60:61], v[68:69], 0x3f2a01a014761f6e
	v_fmaak_f64 v[68:69], v[60:61], v[68:69], 0x3f56c16c1852b7b0
	;; [unrolled: 3-line block ×4, first 2 shown]
	s_delay_alu instid0(VALU_DEP_1) | instskip(NEXT) | instid1(VALU_DEP_1)
	v_fma_f64 v[68:69], v[60:61], v[68:69], 1.0
	v_fma_f64 v[60:61], v[60:61], v[68:69], 1.0
	s_delay_alu instid0(VALU_DEP_1) | instskip(NEXT) | instid1(VALU_DEP_1)
	v_ldexp_f64 v[58:59], v[60:61], v10
	v_add_f64_e32 v[58:59], 1.0, v[58:59]
	s_delay_alu instid0(VALU_DEP_1) | instskip(NEXT) | instid1(VALU_DEP_2)
	v_cndmask_b32_e32 v59, 0x7ff00000, v59, vcc_lo
	v_cndmask_b32_e32 v58, 0, v58, vcc_lo
	s_delay_alu instid0(VALU_DEP_1) | instskip(SKIP_1) | instid1(VALU_DEP_1)
	v_cmp_gt_f64_e32 vcc_lo, 0x10000000, v[58:59]
	v_cndmask_b32_e64 v10, 0, 0x100, vcc_lo
	v_ldexp_f64 v[58:59], v[58:59], v10
	v_cndmask_b32_e64 v10, 0, 0xffffff80, vcc_lo
	s_delay_alu instid0(VALU_DEP_2) | instskip(SKIP_1) | instid1(TRANS32_DEP_1)
	v_rsq_f64_e32 v[60:61], v[58:59]
	v_cmp_class_f64_e64 vcc_lo, v[58:59], 0x260
	v_mul_f64_e32 v[68:69], v[58:59], v[60:61]
	v_mul_f64_e32 v[60:61], 0.5, v[60:61]
	s_delay_alu instid0(VALU_DEP_1) | instskip(NEXT) | instid1(VALU_DEP_1)
	v_fma_f64 v[76:77], -v[60:61], v[68:69], 0.5
	v_fmac_f64_e32 v[68:69], v[68:69], v[76:77]
	v_fmac_f64_e32 v[60:61], v[60:61], v[76:77]
	s_delay_alu instid0(VALU_DEP_2) | instskip(NEXT) | instid1(VALU_DEP_1)
	v_fma_f64 v[120:121], -v[68:69], v[68:69], v[58:59]
	v_fmac_f64_e32 v[68:69], v[120:121], v[60:61]
	s_delay_alu instid0(VALU_DEP_1) | instskip(NEXT) | instid1(VALU_DEP_1)
	v_fma_f64 v[76:77], -v[68:69], v[68:69], v[58:59]
	v_fmac_f64_e32 v[68:69], v[76:77], v[60:61]
	s_delay_alu instid0(VALU_DEP_1) | instskip(NEXT) | instid1(VALU_DEP_1)
	v_ldexp_f64 v[60:61], v[68:69], v10
	v_dual_cndmask_b32 v59, v61, v59 :: v_dual_cndmask_b32 v58, v60, v58
	s_delay_alu instid0(VALU_DEP_1) | instskip(NEXT) | instid1(VALU_DEP_1)
	v_div_scale_f64 v[60:61], null, v[58:59], v[58:59], 0x4095e000
	v_rcp_f64_e32 v[68:69], v[60:61]
	v_nop
	s_delay_alu instid0(TRANS32_DEP_1) | instskip(NEXT) | instid1(VALU_DEP_1)
	v_fma_f64 v[76:77], -v[60:61], v[68:69], 1.0
	v_fmac_f64_e32 v[68:69], v[68:69], v[76:77]
	s_delay_alu instid0(VALU_DEP_1) | instskip(NEXT) | instid1(VALU_DEP_1)
	v_fma_f64 v[76:77], -v[60:61], v[68:69], 1.0
	v_fmac_f64_e32 v[68:69], v[68:69], v[76:77]
	v_div_scale_f64 v[76:77], vcc_lo, 0x4095e000, v[58:59], 0x4095e000
	s_delay_alu instid0(VALU_DEP_1) | instskip(NEXT) | instid1(VALU_DEP_1)
	v_mul_f64_e32 v[120:121], v[76:77], v[68:69]
	v_fma_f64 v[60:61], -v[60:61], v[120:121], v[76:77]
	s_delay_alu instid0(VALU_DEP_1) | instskip(SKIP_2) | instid1(VALU_DEP_3)
	v_div_fmas_f64 v[60:61], v[60:61], v[68:69], v[120:121]
	v_cmp_ngt_f64_e32 vcc_lo, 0xc090cc00, v[42:43]
	v_div_scale_f64 v[42:43], null, 0x402e0000, 0x402e0000, v[0:1]
	v_div_fixup_f64 v[58:59], v[60:61], v[58:59], 0x4095e000
	s_delay_alu instid0(VALU_DEP_2) | instskip(NEXT) | instid1(VALU_DEP_1)
	v_rcp_f64_e32 v[60:61], v[42:43]
	v_cndmask_b32_e32 v59, 0x4095e000, v59, vcc_lo
	s_delay_alu instid0(VALU_DEP_2) | instskip(NEXT) | instid1(TRANS32_DEP_1)
	v_cndmask_b32_e32 v58, 0, v58, vcc_lo
	v_fma_f64 v[68:69], -v[42:43], v[60:61], 1.0
	s_delay_alu instid0(VALU_DEP_1) | instskip(NEXT) | instid1(VALU_DEP_1)
	v_fmac_f64_e32 v[60:61], v[60:61], v[68:69]
	v_fma_f64 v[68:69], -v[42:43], v[60:61], 1.0
	s_delay_alu instid0(VALU_DEP_1) | instskip(SKIP_1) | instid1(VALU_DEP_1)
	v_fmac_f64_e32 v[60:61], v[60:61], v[68:69]
	v_div_scale_f64 v[68:69], vcc_lo, v[0:1], 0x402e0000, v[0:1]
	v_mul_f64_e32 v[76:77], v[68:69], v[60:61]
	s_delay_alu instid0(VALU_DEP_1) | instskip(NEXT) | instid1(VALU_DEP_1)
	v_fma_f64 v[42:43], -v[42:43], v[76:77], v[68:69]
	v_div_fmas_f64 v[42:43], v[42:43], v[60:61], v[76:77]
	s_delay_alu instid0(VALU_DEP_1) | instskip(NEXT) | instid1(VALU_DEP_1)
	v_div_fixup_f64 v[42:43], v[42:43], 0x402e0000, v[0:1]
	v_add_f64_e32 v[42:43], 0xc002aaaaaaaaaaab, v[42:43]
	s_delay_alu instid0(VALU_DEP_1) | instskip(SKIP_1) | instid1(VALU_DEP_2)
	v_mul_f64_e32 v[60:61], 0x3ff71547652b82fe, v[42:43]
	v_cmp_ngt_f64_e64 s0, 0xc090cc00, v[42:43]
	v_rndne_f64_e32 v[60:61], v[60:61]
	s_delay_alu instid0(VALU_DEP_1) | instskip(NEXT) | instid1(VALU_DEP_1)
	v_fmamk_f64 v[68:69], v[60:61], 0xbfe62e42fefa39ef, v[42:43]
	v_fmac_f64_e32 v[68:69], 0xbc7abc9e3b39803f, v[60:61]
	s_delay_alu instid0(VALU_DEP_1) | instskip(NEXT) | instid1(VALU_DEP_1)
	v_fmac_f64_e32 v[46:47], 0x3e5ade156a5dcb37, v[68:69]
	v_fmac_f64_e32 v[4:5], v[68:69], v[46:47]
	s_delay_alu instid0(VALU_DEP_1) | instskip(NEXT) | instid1(VALU_DEP_1)
	v_fmac_f64_e32 v[6:7], v[68:69], v[4:5]
	v_fmac_f64_e32 v[8:9], v[68:69], v[6:7]
	v_cvt_i32_f64_e32 v6, v[60:61]
	s_delay_alu instid0(VALU_DEP_2) | instskip(NEXT) | instid1(VALU_DEP_1)
	v_fmac_f64_e32 v[12:13], v[68:69], v[8:9]
	v_fmac_f64_e32 v[14:15], v[68:69], v[12:13]
	s_delay_alu instid0(VALU_DEP_1) | instskip(NEXT) | instid1(VALU_DEP_1)
	v_fmac_f64_e32 v[20:21], v[68:69], v[14:15]
	v_fmac_f64_e32 v[32:33], v[68:69], v[20:21]
	s_delay_alu instid0(VALU_DEP_1) | instskip(NEXT) | instid1(VALU_DEP_1)
	v_fmac_f64_e32 v[54:55], v[68:69], v[32:33]
	v_fma_f64 v[4:5], v[68:69], v[54:55], 1.0
	s_delay_alu instid0(VALU_DEP_1) | instskip(NEXT) | instid1(VALU_DEP_1)
	v_fma_f64 v[4:5], v[68:69], v[4:5], 1.0
	v_ldexp_f64 v[4:5], v[4:5], v6
	s_delay_alu instid0(VALU_DEP_1) | instskip(NEXT) | instid1(VALU_DEP_1)
	v_add_f64_e32 v[4:5], 1.0, v[4:5]
	v_div_scale_f64 v[6:7], null, v[4:5], v[4:5], 1.0
	s_delay_alu instid0(VALU_DEP_1) | instskip(SKIP_1) | instid1(TRANS32_DEP_1)
	v_rcp_f64_e32 v[8:9], v[6:7]
	v_nop
	v_fma_f64 v[12:13], -v[6:7], v[8:9], 1.0
	s_delay_alu instid0(VALU_DEP_1) | instskip(NEXT) | instid1(VALU_DEP_1)
	v_fmac_f64_e32 v[8:9], v[8:9], v[12:13]
	v_fma_f64 v[12:13], -v[6:7], v[8:9], 1.0
	s_delay_alu instid0(VALU_DEP_1) | instskip(SKIP_1) | instid1(VALU_DEP_1)
	v_fmac_f64_e32 v[8:9], v[8:9], v[12:13]
	v_div_scale_f64 v[12:13], vcc_lo, 1.0, v[4:5], 1.0
	v_mul_f64_e32 v[14:15], v[12:13], v[8:9]
	s_delay_alu instid0(VALU_DEP_1) | instskip(NEXT) | instid1(VALU_DEP_1)
	v_fma_f64 v[6:7], -v[6:7], v[14:15], v[12:13]
	v_div_fmas_f64 v[6:7], v[6:7], v[8:9], v[14:15]
	v_cmp_nlt_f64_e32 vcc_lo, 0x40900000, v[42:43]
	s_delay_alu instid0(VALU_DEP_2) | instskip(NEXT) | instid1(VALU_DEP_1)
	v_div_fixup_f64 v[4:5], v[6:7], v[4:5], 1.0
	v_cndmask_b32_e32 v5, 0, v5, vcc_lo
	s_and_b32 vcc_lo, s0, vcc_lo
	s_delay_alu instid0(VALU_DEP_2) | instskip(NEXT) | instid1(VALU_DEP_2)
	v_cndmask_b32_e32 v4, 0, v4, vcc_lo
	v_cndmask_b32_e64 v5, 0x3ff00000, v5, s0
	s_mov_b64 s[0:1], 0x3e45798ee2308c3a
	s_delay_alu instid0(VALU_DEP_1) | instskip(NEXT) | instid1(VALU_DEP_1)
	v_fmaak_f64 v[4:5], v[4:5], v[58:59], 0x40540000
	v_div_scale_f64 v[6:7], null, v[4:5], v[4:5], v[2:3]
	s_delay_alu instid0(VALU_DEP_1) | instskip(SKIP_1) | instid1(TRANS32_DEP_1)
	v_rcp_f64_e32 v[8:9], v[6:7]
	v_nop
	v_fma_f64 v[12:13], -v[6:7], v[8:9], 1.0
	s_delay_alu instid0(VALU_DEP_1) | instskip(NEXT) | instid1(VALU_DEP_1)
	v_fmac_f64_e32 v[8:9], v[8:9], v[12:13]
	v_fma_f64 v[12:13], -v[6:7], v[8:9], 1.0
	s_delay_alu instid0(VALU_DEP_1) | instskip(SKIP_1) | instid1(VALU_DEP_1)
	v_fmac_f64_e32 v[8:9], v[8:9], v[12:13]
	v_div_scale_f64 v[12:13], vcc_lo, v[2:3], v[4:5], v[2:3]
	v_mul_f64_e32 v[14:15], v[12:13], v[8:9]
	s_delay_alu instid0(VALU_DEP_1) | instskip(NEXT) | instid1(VALU_DEP_1)
	v_fma_f64 v[6:7], -v[6:7], v[14:15], v[12:13]
	v_div_fmas_f64 v[6:7], v[6:7], v[8:9], v[14:15]
	s_delay_alu instid0(VALU_DEP_1) | instskip(SKIP_1) | instid1(VALU_DEP_1)
	v_div_fixup_f64 v[2:3], v[6:7], v[4:5], v[2:3]
	v_div_scale_f64 v[6:7], null, v[4:5], v[4:5], -1.0
	v_rcp_f64_e32 v[8:9], v[6:7]
	v_nop
	s_delay_alu instid0(TRANS32_DEP_1) | instskip(NEXT) | instid1(VALU_DEP_1)
	v_fma_f64 v[12:13], -v[6:7], v[8:9], 1.0
	v_fmac_f64_e32 v[8:9], v[8:9], v[12:13]
	s_delay_alu instid0(VALU_DEP_1) | instskip(NEXT) | instid1(VALU_DEP_1)
	v_fma_f64 v[12:13], -v[6:7], v[8:9], 1.0
	v_fmac_f64_e32 v[8:9], v[8:9], v[12:13]
	v_div_scale_f64 v[12:13], vcc_lo, -1.0, v[4:5], -1.0
	s_delay_alu instid0(VALU_DEP_1) | instskip(NEXT) | instid1(VALU_DEP_1)
	v_mul_f64_e32 v[14:15], v[12:13], v[8:9]
	v_fma_f64 v[6:7], -v[6:7], v[14:15], v[12:13]
	s_delay_alu instid0(VALU_DEP_1) | instskip(NEXT) | instid1(VALU_DEP_1)
	v_div_fmas_f64 v[6:7], v[6:7], v[8:9], v[14:15]
                                        ; implicit-def: $vgpr8_vgpr9
	v_div_fixup_f64 v[4:5], v[6:7], v[4:5], -1.0
	s_delay_alu instid0(VALU_DEP_1) | instskip(SKIP_1) | instid1(SALU_CYCLE_1)
	v_cmp_ngt_f64_e64 s0, |v[4:5]|, s[0:1]
	s_and_saveexec_b32 s1, s0
	s_xor_b32 s0, exec_lo, s1
; %bb.10:
	v_mul_f64_e32 v[8:9], s[12:13], v[2:3]
                                        ; implicit-def: $vgpr4_vgpr5
                                        ; implicit-def: $vgpr2_vgpr3
; %bb.11:
	s_or_saveexec_b32 s1, s0
	v_ashrrev_i32_e32 v107, 31, v106
	v_lshl_add_u64 v[6:7], v[44:45], 3, s[8:9]
	s_xor_b32 exec_lo, exec_lo, s1
	s_cbranch_execz .LBB0_13
; %bb.12:
	v_mul_f64_e32 v[8:9], s[12:13], v[4:5]
	s_mov_b64 s[2:3], 0x3e5ade156a5dcb37
	s_delay_alu instid0(VALU_DEP_1) | instskip(SKIP_2) | instid1(VALU_DEP_3)
	v_mul_f64_e32 v[12:13], 0x3ff71547652b82fe, v[8:9]
	v_cmp_nlt_f64_e32 vcc_lo, 0x40900000, v[8:9]
	v_cmp_ngt_f64_e64 s0, 0xc090cc00, v[8:9]
	v_rndne_f64_e32 v[12:13], v[12:13]
	s_delay_alu instid0(VALU_DEP_1) | instskip(SKIP_1) | instid1(VALU_DEP_2)
	v_fmamk_f64 v[14:15], v[12:13], 0xbfe62e42fefa39ef, v[8:9]
	v_cvt_i32_f64_e32 v10, v[12:13]
	v_fmamk_f64 v[14:15], v[12:13], 0xbc7abc9e3b39803f, v[14:15]
	s_delay_alu instid0(VALU_DEP_1) | instskip(NEXT) | instid1(VALU_DEP_1)
	v_fmaak_f64 v[20:21], s[2:3], v[14:15], 0x3e928af3fca7ab0c
	v_fmaak_f64 v[20:21], v[14:15], v[20:21], 0x3ec71dee623fde64
	s_delay_alu instid0(VALU_DEP_1) | instskip(NEXT) | instid1(VALU_DEP_1)
	v_fmaak_f64 v[20:21], v[14:15], v[20:21], 0x3efa01997c89e6b0
	v_fmaak_f64 v[20:21], v[14:15], v[20:21], 0x3f2a01a014761f6e
	;; [unrolled: 3-line block ×4, first 2 shown]
	s_delay_alu instid0(VALU_DEP_1) | instskip(NEXT) | instid1(VALU_DEP_1)
	v_fmaak_f64 v[20:21], v[14:15], v[20:21], 0x3fe000000000000b
	v_fma_f64 v[20:21], v[14:15], v[20:21], 1.0
	s_delay_alu instid0(VALU_DEP_1) | instskip(NEXT) | instid1(VALU_DEP_1)
	v_fma_f64 v[12:13], v[14:15], v[20:21], 1.0
	v_ldexp_f64 v[12:13], v[12:13], v10
	s_delay_alu instid0(VALU_DEP_1) | instskip(NEXT) | instid1(VALU_DEP_1)
	v_add_f64_e32 v[12:13], -1.0, v[12:13]
	v_cndmask_b32_e32 v10, 0x7ff00000, v13, vcc_lo
	s_and_b32 vcc_lo, s0, vcc_lo
	s_delay_alu instid0(VALU_DEP_2) | instskip(NEXT) | instid1(VALU_DEP_2)
	v_cndmask_b32_e32 v8, 0, v12, vcc_lo
	v_cndmask_b32_e64 v9, 0xbff00000, v10, s0
	s_delay_alu instid0(VALU_DEP_1) | instskip(NEXT) | instid1(VALU_DEP_1)
	v_mul_f64_e32 v[2:3], v[2:3], v[8:9]
	v_div_scale_f64 v[8:9], null, v[4:5], v[4:5], v[2:3]
	s_delay_alu instid0(VALU_DEP_1) | instskip(SKIP_1) | instid1(TRANS32_DEP_1)
	v_rcp_f64_e32 v[12:13], v[8:9]
	v_nop
	v_fma_f64 v[14:15], -v[8:9], v[12:13], 1.0
	s_delay_alu instid0(VALU_DEP_1) | instskip(NEXT) | instid1(VALU_DEP_1)
	v_fmac_f64_e32 v[12:13], v[12:13], v[14:15]
	v_fma_f64 v[14:15], -v[8:9], v[12:13], 1.0
	s_delay_alu instid0(VALU_DEP_1) | instskip(SKIP_1) | instid1(VALU_DEP_1)
	v_fmac_f64_e32 v[12:13], v[12:13], v[14:15]
	v_div_scale_f64 v[14:15], vcc_lo, v[2:3], v[4:5], v[2:3]
	v_mul_f64_e32 v[20:21], v[14:15], v[12:13]
	s_delay_alu instid0(VALU_DEP_1) | instskip(NEXT) | instid1(VALU_DEP_1)
	v_fma_f64 v[8:9], -v[8:9], v[20:21], v[14:15]
	v_div_fmas_f64 v[8:9], v[8:9], v[12:13], v[20:21]
	s_delay_alu instid0(VALU_DEP_1)
	v_div_fixup_f64 v[8:9], v[8:9], v[4:5], v[2:3]
.LBB0_13:
	s_or_b32 exec_lo, exec_lo, s1
	s_delay_alu instid0(VALU_DEP_1)
	v_add_f64_e32 v[2:3], v[40:41], v[8:9]
	v_mov_b64_e32 v[44:45], 0x3e928af3fca7ab0c
	v_mov_b64_e32 v[60:61], 1.0
	scratch_store_b64 off, v[40:41], off offset:264 ; 8-byte Folded Spill
	global_store_b64 v[6:7], v[2:3], off
	s_wait_xcnt 0x0
	v_mul_f64_e32 v[2:3], 0xbfbc5995f8a106f3, v[0:1]
	s_delay_alu instid0(VALU_DEP_1) | instskip(SKIP_2) | instid1(VALU_DEP_3)
	v_mul_f64_e32 v[4:5], 0x3ff71547652b82fe, v[2:3]
	v_cmp_nlt_f64_e32 vcc_lo, 0x40900000, v[2:3]
	v_cmp_ngt_f64_e64 s0, 0xc090cc00, v[2:3]
	v_rndne_f64_e32 v[42:43], v[4:5]
	v_mov_b64_e32 v[4:5], 0x3ec71dee623fde64
	s_delay_alu instid0(VALU_DEP_2) | instskip(SKIP_1) | instid1(VALU_DEP_2)
	v_fmamk_f64 v[54:55], v[42:43], 0xbfe62e42fefa39ef, v[2:3]
	v_cvt_i32_f64_e32 v10, v[42:43]
	v_fmac_f64_e32 v[54:55], 0xbc7abc9e3b39803f, v[42:43]
	s_delay_alu instid0(VALU_DEP_1) | instskip(NEXT) | instid1(VALU_DEP_1)
	v_fmamk_f64 v[6:7], v[54:55], 0x3e5ade156a5dcb37, v[44:45]
	v_fmaak_f64 v[8:9], v[54:55], v[6:7], 0x3ec71dee623fde64
	v_mov_b64_e32 v[6:7], 0x3efa01997c89e6b0
	s_delay_alu instid0(VALU_DEP_2) | instskip(SKIP_1) | instid1(VALU_DEP_2)
	v_fmaak_f64 v[12:13], v[54:55], v[8:9], 0x3efa01997c89e6b0
	v_mov_b64_e32 v[8:9], 0x3f2a01a014761f6e
	v_fmaak_f64 v[14:15], v[54:55], v[12:13], 0x3f2a01a014761f6e
	v_mov_b64_e32 v[12:13], 0x3f56c16c1852b7b0
	s_delay_alu instid0(VALU_DEP_2) | instskip(SKIP_1) | instid1(VALU_DEP_2)
	v_fmaak_f64 v[20:21], v[54:55], v[14:15], 0x3f56c16c1852b7b0
	v_mov_b64_e32 v[14:15], 0x3f81111111122322
	;; [unrolled: 5-line block ×3, first 2 shown]
	v_fmaak_f64 v[58:59], v[54:55], v[46:47], 0x3fc5555555555511
	v_mov_b64_e32 v[46:47], 0x3fe000000000000b
	s_delay_alu instid0(VALU_DEP_2) | instskip(NEXT) | instid1(VALU_DEP_1)
	v_fmaak_f64 v[58:59], v[54:55], v[58:59], 0x3fe000000000000b
	v_fma_f64 v[58:59], v[54:55], v[58:59], 1.0
	s_delay_alu instid0(VALU_DEP_1) | instskip(NEXT) | instid1(VALU_DEP_1)
	v_fma_f64 v[54:55], v[54:55], v[58:59], 1.0
	v_ldexp_f64 v[42:43], v[54:55], v10
	s_delay_alu instid0(VALU_DEP_1) | instskip(NEXT) | instid1(VALU_DEP_1)
	v_fmamk_f64 v[42:43], v[42:43], 0x3f5e2ecb9f942391, v[60:61]
	v_cndmask_b32_e32 v10, 0x7ff00000, v43, vcc_lo
	s_and_b32 vcc_lo, s0, vcc_lo
	s_delay_alu instid0(VALU_DEP_2) | instskip(NEXT) | instid1(VALU_DEP_2)
	v_cndmask_b32_e32 v2, 0, v42, vcc_lo
	v_cndmask_b32_e64 v3, 0x3ff00000, v10, s0
	s_delay_alu instid0(VALU_DEP_1) | instskip(NEXT) | instid1(VALU_DEP_1)
	v_mul_f64_e32 v[2:3], v[2:3], v[2:3]
	v_div_scale_f64 v[42:43], null, v[2:3], v[2:3], 1.0
	s_delay_alu instid0(VALU_DEP_1) | instskip(SKIP_1) | instid1(TRANS32_DEP_1)
	v_rcp_f64_e32 v[54:55], v[42:43]
	v_nop
	v_fma_f64 v[58:59], -v[42:43], v[54:55], 1.0
	s_delay_alu instid0(VALU_DEP_1) | instskip(NEXT) | instid1(VALU_DEP_1)
	v_fmac_f64_e32 v[54:55], v[54:55], v[58:59]
	v_fma_f64 v[58:59], -v[42:43], v[54:55], 1.0
	s_delay_alu instid0(VALU_DEP_1) | instskip(SKIP_1) | instid1(VALU_DEP_1)
	v_fmac_f64_e32 v[54:55], v[54:55], v[58:59]
	v_div_scale_f64 v[58:59], vcc_lo, 1.0, v[2:3], 1.0
	v_mul_f64_e32 v[60:61], v[58:59], v[54:55]
	s_delay_alu instid0(VALU_DEP_1) | instskip(NEXT) | instid1(VALU_DEP_1)
	v_fma_f64 v[42:43], -v[42:43], v[60:61], v[58:59]
	v_div_fmas_f64 v[42:43], v[42:43], v[54:55], v[60:61]
	s_delay_alu instid0(VALU_DEP_1) | instskip(SKIP_1) | instid1(VALU_DEP_2)
	v_div_fixup_f64 v[2:3], v[42:43], v[2:3], 1.0
	v_div_scale_f64 v[42:43], null, 0x40140000, 0x40140000, v[0:1]
	v_add_f64_e64 v[2:3], v[2:3], -v[90:91]
	s_delay_alu instid0(VALU_DEP_2) | instskip(SKIP_1) | instid1(TRANS32_DEP_1)
	v_rcp_f64_e32 v[54:55], v[42:43]
	v_nop
	v_fma_f64 v[58:59], -v[42:43], v[54:55], 1.0
	s_delay_alu instid0(VALU_DEP_1) | instskip(NEXT) | instid1(VALU_DEP_1)
	v_fmac_f64_e32 v[54:55], v[54:55], v[58:59]
	v_fma_f64 v[58:59], -v[42:43], v[54:55], 1.0
	s_delay_alu instid0(VALU_DEP_1) | instskip(SKIP_1) | instid1(VALU_DEP_1)
	v_fmac_f64_e32 v[54:55], v[54:55], v[58:59]
	v_div_scale_f64 v[58:59], vcc_lo, v[0:1], 0x40140000, v[0:1]
	v_mul_f64_e32 v[60:61], v[58:59], v[54:55]
	s_delay_alu instid0(VALU_DEP_1) | instskip(NEXT) | instid1(VALU_DEP_1)
	v_fma_f64 v[42:43], -v[42:43], v[60:61], v[58:59]
	v_div_fmas_f64 v[42:43], v[42:43], v[54:55], v[60:61]
	s_delay_alu instid0(VALU_DEP_1) | instskip(NEXT) | instid1(VALU_DEP_1)
	v_div_fixup_f64 v[76:77], v[42:43], 0x40140000, v[0:1]
	v_add_f64_e64 v[42:43], 0xc0280000, -v[76:77]
	s_delay_alu instid0(VALU_DEP_1) | instskip(SKIP_1) | instid1(VALU_DEP_2)
	v_mul_f64_e32 v[54:55], 0x3ff71547652b82fe, v[42:43]
	v_cmp_ngt_f64_e64 s0, 0xc090cc00, v[42:43]
	v_rndne_f64_e32 v[54:55], v[54:55]
	s_delay_alu instid0(VALU_DEP_1) | instskip(SKIP_1) | instid1(VALU_DEP_2)
	v_fmamk_f64 v[58:59], v[54:55], 0xbfe62e42fefa39ef, v[42:43]
	v_cvt_i32_f64_e32 v10, v[54:55]
	v_fmac_f64_e32 v[58:59], 0xbc7abc9e3b39803f, v[54:55]
	s_delay_alu instid0(VALU_DEP_1) | instskip(NEXT) | instid1(VALU_DEP_1)
	v_fmamk_f64 v[60:61], v[58:59], 0x3e5ade156a5dcb37, v[44:45]
	v_fmaak_f64 v[60:61], v[58:59], v[60:61], 0x3ec71dee623fde64
	s_delay_alu instid0(VALU_DEP_1) | instskip(NEXT) | instid1(VALU_DEP_1)
	v_fmaak_f64 v[60:61], v[58:59], v[60:61], 0x3efa01997c89e6b0
	v_fmaak_f64 v[60:61], v[58:59], v[60:61], 0x3f2a01a014761f6e
	s_delay_alu instid0(VALU_DEP_1) | instskip(NEXT) | instid1(VALU_DEP_1)
	v_fmaak_f64 v[60:61], v[58:59], v[60:61], 0x3f56c16c1852b7b0
	v_fmaak_f64 v[60:61], v[58:59], v[60:61], 0x3f81111111122322
	s_delay_alu instid0(VALU_DEP_1) | instskip(NEXT) | instid1(VALU_DEP_1)
	v_fmaak_f64 v[60:61], v[58:59], v[60:61], 0x3fa55555555502a1
	v_fmaak_f64 v[60:61], v[58:59], v[60:61], 0x3fc5555555555511
	s_delay_alu instid0(VALU_DEP_1) | instskip(NEXT) | instid1(VALU_DEP_1)
	v_fmaak_f64 v[60:61], v[58:59], v[60:61], 0x3fe000000000000b
	v_fma_f64 v[60:61], v[58:59], v[60:61], 1.0
	s_delay_alu instid0(VALU_DEP_1) | instskip(NEXT) | instid1(VALU_DEP_1)
	v_fma_f64 v[58:59], v[58:59], v[60:61], 1.0
	v_ldexp_f64 v[54:55], v[58:59], v10
	s_delay_alu instid0(VALU_DEP_1) | instskip(NEXT) | instid1(VALU_DEP_1)
	v_add_f64_e32 v[54:55], 1.0, v[54:55]
	v_div_scale_f64 v[58:59], null, v[54:55], v[54:55], 1.0
	s_delay_alu instid0(VALU_DEP_1) | instskip(SKIP_1) | instid1(TRANS32_DEP_1)
	v_rcp_f64_e32 v[60:61], v[58:59]
	v_nop
	v_fma_f64 v[68:69], -v[58:59], v[60:61], 1.0
	s_delay_alu instid0(VALU_DEP_1) | instskip(NEXT) | instid1(VALU_DEP_1)
	v_fmac_f64_e32 v[60:61], v[60:61], v[68:69]
	v_fma_f64 v[68:69], -v[58:59], v[60:61], 1.0
	s_delay_alu instid0(VALU_DEP_1) | instskip(SKIP_1) | instid1(VALU_DEP_1)
	v_fmac_f64_e32 v[60:61], v[60:61], v[68:69]
	v_div_scale_f64 v[68:69], vcc_lo, 1.0, v[54:55], 1.0
	v_mul_f64_e32 v[120:121], v[68:69], v[60:61]
	s_delay_alu instid0(VALU_DEP_1) | instskip(NEXT) | instid1(VALU_DEP_1)
	v_fma_f64 v[58:59], -v[58:59], v[120:121], v[68:69]
	v_div_fmas_f64 v[58:59], v[58:59], v[60:61], v[120:121]
	v_cmp_nlt_f64_e32 vcc_lo, 0x40900000, v[42:43]
	v_add_f64_e32 v[42:43], 0x401c0000, v[76:77]
	s_delay_alu instid0(VALU_DEP_3) | instskip(NEXT) | instid1(VALU_DEP_2)
	v_div_fixup_f64 v[54:55], v[58:59], v[54:55], 1.0
	v_mul_f64_e32 v[58:59], 0x3ff71547652b82fe, v[42:43]
	s_delay_alu instid0(VALU_DEP_2) | instskip(SKIP_1) | instid1(VALU_DEP_2)
	v_cndmask_b32_e32 v10, 0, v55, vcc_lo
	s_and_b32 vcc_lo, s0, vcc_lo
	v_rndne_f64_e32 v[58:59], v[58:59]
	s_delay_alu instid0(VALU_DEP_4) | instskip(NEXT) | instid1(VALU_DEP_3)
	v_cndmask_b32_e32 v54, 0, v54, vcc_lo
	v_cndmask_b32_e64 v55, 0x3ff00000, v10, s0
	s_mov_b64 s[0:1], 0x3fb999999999999a
	s_delay_alu instid0(VALU_DEP_3) | instskip(SKIP_1) | instid1(VALU_DEP_2)
	v_fmamk_f64 v[60:61], v[58:59], 0xbfe62e42fefa39ef, v[42:43]
	v_cvt_i32_f64_e32 v10, v[58:59]
	v_fmac_f64_e32 v[60:61], 0xbc7abc9e3b39803f, v[58:59]
	s_delay_alu instid0(VALU_DEP_1) | instskip(NEXT) | instid1(VALU_DEP_1)
	v_fmamk_f64 v[68:69], v[60:61], 0x3e5ade156a5dcb37, v[44:45]
	v_fmaak_f64 v[68:69], v[60:61], v[68:69], 0x3ec71dee623fde64
	s_delay_alu instid0(VALU_DEP_1) | instskip(NEXT) | instid1(VALU_DEP_1)
	v_fmaak_f64 v[68:69], v[60:61], v[68:69], 0x3efa01997c89e6b0
	v_fmaak_f64 v[68:69], v[60:61], v[68:69], 0x3f2a01a014761f6e
	s_delay_alu instid0(VALU_DEP_1) | instskip(NEXT) | instid1(VALU_DEP_1)
	v_fmaak_f64 v[68:69], v[60:61], v[68:69], 0x3f56c16c1852b7b0
	;; [unrolled: 3-line block ×4, first 2 shown]
	v_fma_f64 v[68:69], v[60:61], v[68:69], 1.0
	s_delay_alu instid0(VALU_DEP_1) | instskip(NEXT) | instid1(VALU_DEP_1)
	v_fma_f64 v[60:61], v[60:61], v[68:69], 1.0
	v_ldexp_f64 v[58:59], v[60:61], v10
	s_delay_alu instid0(VALU_DEP_1) | instskip(NEXT) | instid1(VALU_DEP_1)
	v_add_f64_e32 v[58:59], 1.0, v[58:59]
	v_div_scale_f64 v[60:61], null, v[58:59], v[58:59], s[0:1]
	s_delay_alu instid0(VALU_DEP_1) | instskip(SKIP_1) | instid1(TRANS32_DEP_1)
	v_rcp_f64_e32 v[68:69], v[60:61]
	v_nop
	v_fma_f64 v[120:121], -v[60:61], v[68:69], 1.0
	s_delay_alu instid0(VALU_DEP_1) | instskip(NEXT) | instid1(VALU_DEP_1)
	v_fmac_f64_e32 v[68:69], v[68:69], v[120:121]
	v_fma_f64 v[120:121], -v[60:61], v[68:69], 1.0
	s_delay_alu instid0(VALU_DEP_1) | instskip(SKIP_1) | instid1(VALU_DEP_1)
	v_fmac_f64_e32 v[68:69], v[68:69], v[120:121]
	v_div_scale_f64 v[120:121], vcc_lo, s[0:1], v[58:59], s[0:1]
	v_mul_f64_e32 v[108:109], v[120:121], v[68:69]
	s_delay_alu instid0(VALU_DEP_1) | instskip(NEXT) | instid1(VALU_DEP_1)
	v_fma_f64 v[60:61], -v[60:61], v[108:109], v[120:121]
	v_div_fmas_f64 v[60:61], v[60:61], v[68:69], v[108:109]
	v_cmp_nlt_f64_e32 vcc_lo, 0x40900000, v[42:43]
	s_delay_alu instid0(VALU_DEP_2) | instskip(NEXT) | instid1(VALU_DEP_1)
	v_div_fixup_f64 v[58:59], v[60:61], v[58:59], s[0:1]
	v_dual_cndmask_b32 v10, 0, v58 :: v_dual_cndmask_b32 v11, 0, v59
	v_cmp_ngt_f64_e32 vcc_lo, 0xc090cc00, v[42:43]
	v_div_scale_f64 v[42:43], null, 0x40690000, 0x40690000, v[0:1]
	s_delay_alu instid0(VALU_DEP_3) | instskip(NEXT) | instid1(VALU_DEP_2)
	v_cndmask_b32_e32 v59, 0x3fb99999, v11, vcc_lo
	v_rcp_f64_e32 v[60:61], v[42:43]
	v_cndmask_b32_e32 v58, 0x9999999a, v10, vcc_lo
	s_delay_alu instid0(TRANS32_DEP_1) | instskip(NEXT) | instid1(VALU_DEP_1)
	v_fma_f64 v[68:69], -v[42:43], v[60:61], 1.0
	v_fmac_f64_e32 v[60:61], v[60:61], v[68:69]
	s_delay_alu instid0(VALU_DEP_1) | instskip(NEXT) | instid1(VALU_DEP_1)
	v_fma_f64 v[68:69], -v[42:43], v[60:61], 1.0
	v_fmac_f64_e32 v[60:61], v[60:61], v[68:69]
	v_div_scale_f64 v[68:69], vcc_lo, v[0:1], 0x40690000, v[0:1]
	s_delay_alu instid0(VALU_DEP_1) | instskip(NEXT) | instid1(VALU_DEP_1)
	v_mul_f64_e32 v[108:109], v[68:69], v[60:61]
	v_fma_f64 v[42:43], -v[42:43], v[108:109], v[68:69]
	s_delay_alu instid0(VALU_DEP_1) | instskip(NEXT) | instid1(VALU_DEP_1)
	v_div_fmas_f64 v[42:43], v[42:43], v[60:61], v[108:109]
	v_div_fixup_f64 v[42:43], v[42:43], 0x40690000, v[0:1]
	s_delay_alu instid0(VALU_DEP_1) | instskip(NEXT) | instid1(VALU_DEP_1)
	v_add_f64_e32 v[42:43], 0xbfd00000, v[42:43]
	v_mul_f64_e32 v[60:61], 0x3ff71547652b82fe, v[42:43]
	s_delay_alu instid0(VALU_DEP_1) | instskip(NEXT) | instid1(VALU_DEP_1)
	v_rndne_f64_e32 v[60:61], v[60:61]
	v_fmamk_f64 v[68:69], v[60:61], 0xbfe62e42fefa39ef, v[42:43]
	s_delay_alu instid0(VALU_DEP_1) | instskip(NEXT) | instid1(VALU_DEP_1)
	v_fmac_f64_e32 v[68:69], 0xbc7abc9e3b39803f, v[60:61]
	v_fmac_f64_e32 v[44:45], 0x3e5ade156a5dcb37, v[68:69]
	s_delay_alu instid0(VALU_DEP_1) | instskip(NEXT) | instid1(VALU_DEP_1)
	v_fmac_f64_e32 v[4:5], v[68:69], v[44:45]
	v_fmac_f64_e32 v[6:7], v[68:69], v[4:5]
	s_delay_alu instid0(VALU_DEP_1) | instskip(SKIP_1) | instid1(VALU_DEP_2)
	v_fmac_f64_e32 v[8:9], v[68:69], v[6:7]
	v_cvt_i32_f64_e32 v6, v[60:61]
	v_fmac_f64_e32 v[12:13], v[68:69], v[8:9]
	s_delay_alu instid0(VALU_DEP_1) | instskip(NEXT) | instid1(VALU_DEP_1)
	v_fmac_f64_e32 v[14:15], v[68:69], v[12:13]
	v_fmac_f64_e32 v[20:21], v[68:69], v[14:15]
	s_delay_alu instid0(VALU_DEP_1) | instskip(NEXT) | instid1(VALU_DEP_1)
	v_fmac_f64_e32 v[32:33], v[68:69], v[20:21]
	v_fmac_f64_e32 v[46:47], v[68:69], v[32:33]
	s_delay_alu instid0(VALU_DEP_1) | instskip(NEXT) | instid1(VALU_DEP_1)
	v_fma_f64 v[4:5], v[68:69], v[46:47], 1.0
	v_fma_f64 v[4:5], v[68:69], v[4:5], 1.0
	s_delay_alu instid0(VALU_DEP_1) | instskip(NEXT) | instid1(VALU_DEP_1)
	v_ldexp_f64 v[4:5], v[4:5], v6
	v_add_f64_e32 v[4:5], 1.0, v[4:5]
	s_delay_alu instid0(VALU_DEP_1) | instskip(NEXT) | instid1(VALU_DEP_1)
	v_div_scale_f64 v[6:7], null, v[4:5], v[4:5], s[0:1]
	v_rcp_f64_e32 v[8:9], v[6:7]
	v_nop
	s_delay_alu instid0(TRANS32_DEP_1) | instskip(NEXT) | instid1(VALU_DEP_1)
	v_fma_f64 v[12:13], -v[6:7], v[8:9], 1.0
	v_fmac_f64_e32 v[8:9], v[8:9], v[12:13]
	s_delay_alu instid0(VALU_DEP_1) | instskip(NEXT) | instid1(VALU_DEP_1)
	v_fma_f64 v[12:13], -v[6:7], v[8:9], 1.0
	v_fmac_f64_e32 v[8:9], v[8:9], v[12:13]
	v_div_scale_f64 v[12:13], vcc_lo, s[0:1], v[4:5], s[0:1]
	s_delay_alu instid0(VALU_DEP_1) | instskip(NEXT) | instid1(VALU_DEP_1)
	v_mul_f64_e32 v[14:15], v[12:13], v[8:9]
	v_fma_f64 v[6:7], -v[6:7], v[14:15], v[12:13]
	s_delay_alu instid0(VALU_DEP_1) | instskip(SKIP_1) | instid1(VALU_DEP_2)
	v_div_fmas_f64 v[6:7], v[6:7], v[8:9], v[14:15]
	v_cmp_nlt_f64_e32 vcc_lo, 0x40900000, v[42:43]
	v_div_fixup_f64 v[4:5], v[6:7], v[4:5], s[0:1]
	s_mov_b64 s[0:1], 0x3e45798ee2308c3a
	s_delay_alu instid0(VALU_DEP_1) | instskip(SKIP_1) | instid1(VALU_DEP_2)
	v_dual_cndmask_b32 v4, 0, v4 :: v_dual_cndmask_b32 v5, 0, v5
	v_cmp_ngt_f64_e32 vcc_lo, 0xc090cc00, v[42:43]
	v_cndmask_b32_e32 v5, 0x3fb99999, v5, vcc_lo
	s_delay_alu instid0(VALU_DEP_3) | instskip(NEXT) | instid1(VALU_DEP_1)
	v_cndmask_b32_e32 v4, 0x9999999a, v4, vcc_lo
	v_add_f64_e32 v[4:5], v[58:59], v[4:5]
	s_delay_alu instid0(VALU_DEP_1) | instskip(NEXT) | instid1(VALU_DEP_1)
	v_mul_f64_e32 v[4:5], v[54:55], v[4:5]
	v_div_scale_f64 v[6:7], null, v[4:5], v[4:5], v[2:3]
	s_delay_alu instid0(VALU_DEP_1) | instskip(SKIP_1) | instid1(TRANS32_DEP_1)
	v_rcp_f64_e32 v[8:9], v[6:7]
	v_nop
	v_fma_f64 v[12:13], -v[6:7], v[8:9], 1.0
	s_delay_alu instid0(VALU_DEP_1) | instskip(NEXT) | instid1(VALU_DEP_1)
	v_fmac_f64_e32 v[8:9], v[8:9], v[12:13]
	v_fma_f64 v[12:13], -v[6:7], v[8:9], 1.0
	s_delay_alu instid0(VALU_DEP_1) | instskip(SKIP_1) | instid1(VALU_DEP_1)
	v_fmac_f64_e32 v[8:9], v[8:9], v[12:13]
	v_div_scale_f64 v[12:13], vcc_lo, v[2:3], v[4:5], v[2:3]
	v_mul_f64_e32 v[14:15], v[12:13], v[8:9]
	s_delay_alu instid0(VALU_DEP_1) | instskip(NEXT) | instid1(VALU_DEP_1)
	v_fma_f64 v[6:7], -v[6:7], v[14:15], v[12:13]
	v_div_fmas_f64 v[6:7], v[6:7], v[8:9], v[14:15]
	s_delay_alu instid0(VALU_DEP_1) | instskip(SKIP_1) | instid1(VALU_DEP_1)
	v_div_fixup_f64 v[2:3], v[6:7], v[4:5], v[2:3]
	v_div_scale_f64 v[6:7], null, v[4:5], v[4:5], -1.0
	v_rcp_f64_e32 v[8:9], v[6:7]
	v_nop
	s_delay_alu instid0(TRANS32_DEP_1) | instskip(NEXT) | instid1(VALU_DEP_1)
	v_fma_f64 v[12:13], -v[6:7], v[8:9], 1.0
	v_fmac_f64_e32 v[8:9], v[8:9], v[12:13]
	s_delay_alu instid0(VALU_DEP_1) | instskip(NEXT) | instid1(VALU_DEP_1)
	v_fma_f64 v[12:13], -v[6:7], v[8:9], 1.0
	v_fmac_f64_e32 v[8:9], v[8:9], v[12:13]
	v_div_scale_f64 v[12:13], vcc_lo, -1.0, v[4:5], -1.0
	s_delay_alu instid0(VALU_DEP_1) | instskip(NEXT) | instid1(VALU_DEP_1)
	v_mul_f64_e32 v[14:15], v[12:13], v[8:9]
	v_fma_f64 v[6:7], -v[6:7], v[14:15], v[12:13]
	s_delay_alu instid0(VALU_DEP_1) | instskip(NEXT) | instid1(VALU_DEP_1)
	v_div_fmas_f64 v[6:7], v[6:7], v[8:9], v[14:15]
                                        ; implicit-def: $vgpr8_vgpr9
	v_div_fixup_f64 v[4:5], v[6:7], v[4:5], -1.0
	s_delay_alu instid0(VALU_DEP_1) | instskip(SKIP_1) | instid1(SALU_CYCLE_1)
	v_cmp_ngt_f64_e64 s0, |v[4:5]|, s[0:1]
	s_and_saveexec_b32 s1, s0
	s_xor_b32 s0, exec_lo, s1
; %bb.14:
	v_mul_f64_e32 v[8:9], s[12:13], v[2:3]
                                        ; implicit-def: $vgpr4_vgpr5
                                        ; implicit-def: $vgpr2_vgpr3
; %bb.15:
	s_or_saveexec_b32 s1, s0
	v_lshl_add_u64 v[6:7], v[106:107], 3, s[8:9]
	s_xor_b32 exec_lo, exec_lo, s1
	s_cbranch_execz .LBB0_17
; %bb.16:
	v_mul_f64_e32 v[8:9], s[12:13], v[4:5]
	s_mov_b64 s[2:3], 0x3e5ade156a5dcb37
	s_delay_alu instid0(VALU_DEP_1) | instskip(SKIP_2) | instid1(VALU_DEP_3)
	v_mul_f64_e32 v[12:13], 0x3ff71547652b82fe, v[8:9]
	v_cmp_nlt_f64_e32 vcc_lo, 0x40900000, v[8:9]
	v_cmp_ngt_f64_e64 s0, 0xc090cc00, v[8:9]
	v_rndne_f64_e32 v[12:13], v[12:13]
	s_delay_alu instid0(VALU_DEP_1) | instskip(SKIP_1) | instid1(VALU_DEP_2)
	v_fmamk_f64 v[14:15], v[12:13], 0xbfe62e42fefa39ef, v[8:9]
	v_cvt_i32_f64_e32 v10, v[12:13]
	v_fmamk_f64 v[14:15], v[12:13], 0xbc7abc9e3b39803f, v[14:15]
	s_delay_alu instid0(VALU_DEP_1) | instskip(NEXT) | instid1(VALU_DEP_1)
	v_fmaak_f64 v[20:21], s[2:3], v[14:15], 0x3e928af3fca7ab0c
	v_fmaak_f64 v[20:21], v[14:15], v[20:21], 0x3ec71dee623fde64
	s_delay_alu instid0(VALU_DEP_1) | instskip(NEXT) | instid1(VALU_DEP_1)
	v_fmaak_f64 v[20:21], v[14:15], v[20:21], 0x3efa01997c89e6b0
	v_fmaak_f64 v[20:21], v[14:15], v[20:21], 0x3f2a01a014761f6e
	;; [unrolled: 3-line block ×4, first 2 shown]
	s_delay_alu instid0(VALU_DEP_1) | instskip(NEXT) | instid1(VALU_DEP_1)
	v_fmaak_f64 v[20:21], v[14:15], v[20:21], 0x3fe000000000000b
	v_fma_f64 v[20:21], v[14:15], v[20:21], 1.0
	s_delay_alu instid0(VALU_DEP_1) | instskip(NEXT) | instid1(VALU_DEP_1)
	v_fma_f64 v[12:13], v[14:15], v[20:21], 1.0
	v_ldexp_f64 v[12:13], v[12:13], v10
	s_delay_alu instid0(VALU_DEP_1) | instskip(NEXT) | instid1(VALU_DEP_1)
	v_add_f64_e32 v[12:13], -1.0, v[12:13]
	v_cndmask_b32_e32 v10, 0x7ff00000, v13, vcc_lo
	s_and_b32 vcc_lo, s0, vcc_lo
	s_delay_alu instid0(VALU_DEP_2) | instskip(NEXT) | instid1(VALU_DEP_2)
	v_cndmask_b32_e32 v8, 0, v12, vcc_lo
	v_cndmask_b32_e64 v9, 0xbff00000, v10, s0
	s_delay_alu instid0(VALU_DEP_1) | instskip(NEXT) | instid1(VALU_DEP_1)
	v_mul_f64_e32 v[2:3], v[2:3], v[8:9]
	v_div_scale_f64 v[8:9], null, v[4:5], v[4:5], v[2:3]
	s_delay_alu instid0(VALU_DEP_1) | instskip(SKIP_1) | instid1(TRANS32_DEP_1)
	v_rcp_f64_e32 v[12:13], v[8:9]
	v_nop
	v_fma_f64 v[14:15], -v[8:9], v[12:13], 1.0
	s_delay_alu instid0(VALU_DEP_1) | instskip(NEXT) | instid1(VALU_DEP_1)
	v_fmac_f64_e32 v[12:13], v[12:13], v[14:15]
	v_fma_f64 v[14:15], -v[8:9], v[12:13], 1.0
	s_delay_alu instid0(VALU_DEP_1) | instskip(SKIP_1) | instid1(VALU_DEP_1)
	v_fmac_f64_e32 v[12:13], v[12:13], v[14:15]
	v_div_scale_f64 v[14:15], vcc_lo, v[2:3], v[4:5], v[2:3]
	v_mul_f64_e32 v[20:21], v[14:15], v[12:13]
	s_delay_alu instid0(VALU_DEP_1) | instskip(NEXT) | instid1(VALU_DEP_1)
	v_fma_f64 v[8:9], -v[8:9], v[20:21], v[14:15]
	v_div_fmas_f64 v[8:9], v[8:9], v[12:13], v[20:21]
	s_delay_alu instid0(VALU_DEP_1)
	v_div_fixup_f64 v[8:9], v[8:9], v[4:5], v[2:3]
.LBB0_17:
	s_or_b32 exec_lo, exec_lo, s1
	s_delay_alu instid0(VALU_DEP_1)
	v_add_f64_e32 v[2:3], v[90:91], v[8:9]
	v_cmp_gt_f64_e64 s0, 0xc0440000, v[0:1]
	v_mov_b64_e32 v[4:5], 0
	v_cmp_ngt_f64_e32 vcc_lo, 0xc0440000, v[0:1]
	global_store_b64 v[6:7], v[2:3], off
	s_wait_xcnt 0x0
	s_and_saveexec_b32 s3, s0
	s_cbranch_execz .LBB0_19
; %bb.18:
	v_mul_f64_e32 v[2:3], 0xbfc2d2d2d2d2d2db, v[0:1]
	s_mov_b64 s[4:5], 0x3e5ade156a5dcb37
	s_delay_alu instid0(VALU_DEP_1) | instskip(SKIP_2) | instid1(VALU_DEP_3)
	v_mul_f64_e32 v[4:5], 0x3ff71547652b82fe, v[2:3]
	v_cmp_nlt_f64_e64 s1, 0x40900000, v[2:3]
	v_cmp_ngt_f64_e64 s2, 0xc090cc00, v[2:3]
	v_rndne_f64_e32 v[4:5], v[4:5]
	s_delay_alu instid0(VALU_DEP_1) | instskip(SKIP_1) | instid1(VALU_DEP_2)
	v_fmamk_f64 v[6:7], v[4:5], 0xbfe62e42fefa39ef, v[2:3]
	v_cvt_i32_f64_e32 v10, v[4:5]
	v_fmamk_f64 v[6:7], v[4:5], 0xbc7abc9e3b39803f, v[6:7]
	s_delay_alu instid0(VALU_DEP_1) | instskip(NEXT) | instid1(VALU_DEP_1)
	v_fmaak_f64 v[8:9], s[4:5], v[6:7], 0x3e928af3fca7ab0c
	v_fmaak_f64 v[8:9], v[6:7], v[8:9], 0x3ec71dee623fde64
	s_delay_alu instid0(VALU_DEP_1) | instskip(NEXT) | instid1(VALU_DEP_1)
	v_fmaak_f64 v[8:9], v[6:7], v[8:9], 0x3efa01997c89e6b0
	v_fmaak_f64 v[8:9], v[6:7], v[8:9], 0x3f2a01a014761f6e
	;; [unrolled: 3-line block ×4, first 2 shown]
	s_delay_alu instid0(VALU_DEP_1) | instskip(NEXT) | instid1(VALU_DEP_1)
	v_fmaak_f64 v[8:9], v[6:7], v[8:9], 0x3fe000000000000b
	v_fma_f64 v[8:9], v[6:7], v[8:9], 1.0
	s_delay_alu instid0(VALU_DEP_1) | instskip(NEXT) | instid1(VALU_DEP_1)
	v_fma_f64 v[4:5], v[6:7], v[8:9], 1.0
	v_ldexp_f64 v[4:5], v[4:5], v10
	s_delay_alu instid0(VALU_DEP_1) | instskip(NEXT) | instid1(VALU_DEP_1)
	v_mul_f64_e32 v[4:5], 0x3e9dbcdc3ee93363, v[4:5]
	v_cndmask_b32_e64 v5, 0x7ff00000, v5, s1
	s_and_b32 s1, s2, s1
	s_delay_alu instid0(VALU_DEP_1) | instid1(SALU_CYCLE_1)
	v_dual_cndmask_b32 v4, 0, v4, s1 :: v_dual_cndmask_b32 v5, 0, v5, s2
.LBB0_19:
	s_or_b32 exec_lo, exec_lo, s3
                                        ; implicit-def: $vgpr6_vgpr7
	s_and_saveexec_b32 s1, vcc_lo
	s_delay_alu instid0(SALU_CYCLE_1)
	s_xor_b32 s1, exec_lo, s1
	s_cbranch_execz .LBB0_21
; %bb.20:
	v_mul_f64_e32 v[2:3], 0xbfb71024e6a17103, v[0:1]
	s_mov_b64 s[2:3], 0x3e5ade156a5dcb37
	s_delay_alu instid0(VALU_DEP_1) | instskip(NEXT) | instid1(VALU_DEP_1)
	v_mul_f64_e32 v[6:7], 0x3ff71547652b82fe, v[2:3]
	v_rndne_f64_e32 v[6:7], v[6:7]
	s_delay_alu instid0(VALU_DEP_1) | instskip(SKIP_1) | instid1(VALU_DEP_2)
	v_fmamk_f64 v[8:9], v[6:7], 0xbfe62e42fefa39ef, v[2:3]
	v_cvt_i32_f64_e32 v10, v[6:7]
	v_fmamk_f64 v[8:9], v[6:7], 0xbc7abc9e3b39803f, v[8:9]
	s_delay_alu instid0(VALU_DEP_1) | instskip(SKIP_1) | instid1(VALU_DEP_1)
	v_fmaak_f64 v[12:13], s[2:3], v[8:9], 0x3e928af3fca7ab0c
	s_mov_b64 s[2:3], 0x3fa979e629549e5d
	v_fmaak_f64 v[12:13], v[8:9], v[12:13], 0x3ec71dee623fde64
	s_delay_alu instid0(VALU_DEP_1) | instskip(NEXT) | instid1(VALU_DEP_1)
	v_fmaak_f64 v[12:13], v[8:9], v[12:13], 0x3efa01997c89e6b0
	v_fmaak_f64 v[12:13], v[8:9], v[12:13], 0x3f2a01a014761f6e
	s_delay_alu instid0(VALU_DEP_1) | instskip(NEXT) | instid1(VALU_DEP_1)
	v_fmaak_f64 v[12:13], v[8:9], v[12:13], 0x3f56c16c1852b7b0
	;; [unrolled: 3-line block ×4, first 2 shown]
	v_fma_f64 v[12:13], v[8:9], v[12:13], 1.0
	s_delay_alu instid0(VALU_DEP_1) | instskip(NEXT) | instid1(VALU_DEP_1)
	v_fma_f64 v[6:7], v[8:9], v[12:13], 1.0
	v_ldexp_f64 v[6:7], v[6:7], v10
	s_delay_alu instid0(VALU_DEP_1)
	v_fmaak_f64 v[6:7], s[2:3], v[6:7], 0x3fc0a3d70a3d70a4
	s_mov_b64 s[2:3], 0x3fe8a3d70a3d70a4
	s_delay_alu instid0(VALU_DEP_1) | instid1(SALU_CYCLE_1)
	v_div_scale_f64 v[8:9], null, v[6:7], v[6:7], s[2:3]
	v_div_scale_f64 v[20:21], vcc_lo, s[2:3], v[6:7], s[2:3]
	s_delay_alu instid0(VALU_DEP_2) | instskip(SKIP_1) | instid1(TRANS32_DEP_1)
	v_rcp_f64_e32 v[12:13], v[8:9]
	v_nop
	v_fma_f64 v[14:15], -v[8:9], v[12:13], 1.0
	s_delay_alu instid0(VALU_DEP_1) | instskip(NEXT) | instid1(VALU_DEP_1)
	v_fmac_f64_e32 v[12:13], v[12:13], v[14:15]
	v_fma_f64 v[14:15], -v[8:9], v[12:13], 1.0
	s_delay_alu instid0(VALU_DEP_1) | instskip(NEXT) | instid1(VALU_DEP_1)
	v_fmac_f64_e32 v[12:13], v[12:13], v[14:15]
	v_mul_f64_e32 v[14:15], v[20:21], v[12:13]
	s_delay_alu instid0(VALU_DEP_1) | instskip(NEXT) | instid1(VALU_DEP_1)
	v_fma_f64 v[8:9], -v[8:9], v[14:15], v[20:21]
	v_div_fmas_f64 v[8:9], v[8:9], v[12:13], v[14:15]
	v_cmp_nlt_f64_e32 vcc_lo, 0x40900000, v[2:3]
	s_delay_alu instid0(VALU_DEP_2) | instskip(NEXT) | instid1(VALU_DEP_1)
	v_div_fixup_f64 v[6:7], v[8:9], v[6:7], s[2:3]
	v_dual_cndmask_b32 v6, 0, v6 :: v_dual_cndmask_b32 v7, 0, v7
	v_cmp_ngt_f64_e32 vcc_lo, 0xc090cc00, v[2:3]
	s_delay_alu instid0(VALU_DEP_2) | instskip(NEXT) | instid1(VALU_DEP_3)
	v_cndmask_b32_e32 v7, 0x4017b13b, v7, vcc_lo
	v_cndmask_b32_e32 v6, 0x13b13b14, v6, vcc_lo
	s_or_saveexec_b32 s4, s1
	v_ashrrev_i32_e32 v29, 31, v28
	s_xor_b32 exec_lo, exec_lo, s4
	s_cbranch_execnz .LBB0_22
	s_branch .LBB0_23
.LBB0_21:
	s_or_saveexec_b32 s4, s1
	v_ashrrev_i32_e32 v29, 31, v28
	s_xor_b32 exec_lo, exec_lo, s4
	s_cbranch_execz .LBB0_23
.LBB0_22:
	v_mul_f64_e32 v[2:3], 0x3fd64dd2f1a9fbe7, v[0:1]
	v_mul_f64_e32 v[6:7], 0x3fb4395810624dd3, v[0:1]
	v_mov_b64_e32 v[32:33], 0x3e928af3fca7ab0c
	v_mov_b64_e32 v[44:45], 0x3ec71dee623fde64
	s_delay_alu instid0(VALU_DEP_4) | instskip(NEXT) | instid1(VALU_DEP_4)
	v_mul_f64_e32 v[8:9], 0x3ff71547652b82fe, v[2:3]
	v_mul_f64_e32 v[12:13], 0x3ff71547652b82fe, v[6:7]
	v_cmp_nlt_f64_e32 vcc_lo, 0x40900000, v[2:3]
	v_cmp_nlt_f64_e64 s2, 0x40900000, v[6:7]
	v_cmp_ngt_f64_e64 s1, 0xc090cc00, v[2:3]
	v_cmp_ngt_f64_e64 s3, 0xc090cc00, v[6:7]
	v_rndne_f64_e32 v[8:9], v[8:9]
	v_rndne_f64_e32 v[12:13], v[12:13]
	s_delay_alu instid0(VALU_DEP_2) | instskip(NEXT) | instid1(VALU_DEP_2)
	v_fmamk_f64 v[14:15], v[8:9], 0xbfe62e42fefa39ef, v[2:3]
	v_fmamk_f64 v[20:21], v[12:13], 0xbfe62e42fefa39ef, v[6:7]
	v_cvt_i32_f64_e32 v10, v[8:9]
	v_cvt_i32_f64_e32 v11, v[12:13]
	s_delay_alu instid0(VALU_DEP_4) | instskip(NEXT) | instid1(VALU_DEP_4)
	v_fmac_f64_e32 v[14:15], 0xbc7abc9e3b39803f, v[8:9]
	v_fmac_f64_e32 v[20:21], 0xbc7abc9e3b39803f, v[12:13]
	s_delay_alu instid0(VALU_DEP_2) | instskip(NEXT) | instid1(VALU_DEP_2)
	v_fmamk_f64 v[42:43], v[14:15], 0x3e5ade156a5dcb37, v[32:33]
	v_fmac_f64_e32 v[32:33], 0x3e5ade156a5dcb37, v[20:21]
	s_delay_alu instid0(VALU_DEP_1) | instskip(SKIP_1) | instid1(VALU_DEP_1)
	v_fmac_f64_e32 v[44:45], v[20:21], v[32:33]
	v_mov_b64_e32 v[32:33], 0x3efa01997c89e6b0
	v_fmac_f64_e32 v[32:33], v[20:21], v[44:45]
	v_mov_b64_e32 v[44:45], 0x3f2a01a014761f6e
	s_delay_alu instid0(VALU_DEP_1) | instskip(SKIP_1) | instid1(VALU_DEP_1)
	v_fmac_f64_e32 v[44:45], v[20:21], v[32:33]
	v_mov_b64_e32 v[32:33], 0x3f56c16c1852b7b0
	v_fmac_f64_e32 v[32:33], v[20:21], v[44:45]
	v_mov_b64_e32 v[44:45], 0x3f81111111122322
	;; [unrolled: 5-line block ×3, first 2 shown]
	s_delay_alu instid0(VALU_DEP_1) | instskip(SKIP_2) | instid1(VALU_DEP_2)
	v_fmac_f64_e32 v[44:45], v[20:21], v[32:33]
	v_fmaak_f64 v[32:33], v[14:15], v[42:43], 0x3ec71dee623fde64
	v_mov_b64_e32 v[42:43], 0x3fe000000000000b
	v_fmaak_f64 v[32:33], v[14:15], v[32:33], 0x3efa01997c89e6b0
	s_delay_alu instid0(VALU_DEP_1) | instskip(NEXT) | instid1(VALU_DEP_1)
	v_fmaak_f64 v[32:33], v[14:15], v[32:33], 0x3f2a01a014761f6e
	v_fmaak_f64 v[32:33], v[14:15], v[32:33], 0x3f56c16c1852b7b0
	s_delay_alu instid0(VALU_DEP_1) | instskip(SKIP_1) | instid1(VALU_DEP_2)
	v_fmaak_f64 v[32:33], v[14:15], v[32:33], 0x3f81111111122322
	v_fmac_f64_e32 v[42:43], v[20:21], v[44:45]
	v_fmaak_f64 v[32:33], v[14:15], v[32:33], 0x3fa55555555502a1
	s_delay_alu instid0(VALU_DEP_1) | instskip(NEXT) | instid1(VALU_DEP_1)
	v_fmaak_f64 v[32:33], v[14:15], v[32:33], 0x3fc5555555555511
	v_fmaak_f64 v[32:33], v[14:15], v[32:33], 0x3fe000000000000b
	s_delay_alu instid0(VALU_DEP_1) | instskip(SKIP_1) | instid1(VALU_DEP_2)
	v_fma_f64 v[32:33], v[14:15], v[32:33], 1.0
	v_fma_f64 v[42:43], v[20:21], v[42:43], 1.0
	;; [unrolled: 1-line block ×3, first 2 shown]
	s_delay_alu instid0(VALU_DEP_2) | instskip(NEXT) | instid1(VALU_DEP_2)
	v_fma_f64 v[12:13], v[20:21], v[42:43], 1.0
	v_ldexp_f64 v[8:9], v[8:9], v10
	s_delay_alu instid0(VALU_DEP_2) | instskip(NEXT) | instid1(VALU_DEP_2)
	v_ldexp_f64 v[12:13], v[12:13], v11
	v_mul_f64_e32 v[8:9], 0x4112ebc0, v[8:9]
	s_delay_alu instid0(VALU_DEP_2) | instskip(NEXT) | instid1(VALU_DEP_2)
	v_mul_f64_e32 v[12:13], 0x400599999999999a, v[12:13]
	v_cndmask_b32_e32 v9, 0x7ff00000, v9, vcc_lo
	s_and_b32 vcc_lo, s1, vcc_lo
	s_delay_alu instid0(VALU_DEP_3) | instskip(SKIP_1) | instid1(VALU_DEP_2)
	v_cndmask_b32_e32 v2, 0, v8, vcc_lo
	s_and_b32 vcc_lo, s3, s2
	v_cndmask_b32_e64 v3, 0, v9, s1
	s_delay_alu instid0(VALU_DEP_4) | instskip(NEXT) | instid1(VALU_DEP_1)
	v_cndmask_b32_e64 v10, 0x7ff00000, v13, s2
	v_dual_cndmask_b32 v6, 0, v12, vcc_lo :: v_dual_cndmask_b32 v7, 0, v10, s3
	s_delay_alu instid0(VALU_DEP_1)
	v_add_f64_e32 v[6:7], v[2:3], v[6:7]
.LBB0_23:
	s_or_b32 exec_lo, exec_lo, s4
	v_mul_f64_e32 v[2:3], 0x3fc13a3a92c72650, v[0:1]
	s_mov_b64 s[2:3], 0x3e5ade156a5dcb37
	v_mov_b64_e32 v[20:21], 1.0
	s_delay_alu instid0(VALU_DEP_3) | instskip(NEXT) | instid1(VALU_DEP_3)
	v_add_f64_e32 v[4:5], v[4:5], v[6:7]
	v_mul_f64_e32 v[8:9], 0x3ff71547652b82fe, v[2:3]
	v_cmp_nlt_f64_e32 vcc_lo, 0x40900000, v[2:3]
	v_cmp_ngt_f64_e64 s1, 0xc090cc00, v[2:3]
	s_delay_alu instid0(VALU_DEP_4) | instskip(NEXT) | instid1(VALU_DEP_4)
	v_div_scale_f64 v[6:7], null, v[4:5], v[4:5], 1.0
	v_rndne_f64_e32 v[8:9], v[8:9]
	s_delay_alu instid0(VALU_DEP_1) | instskip(NEXT) | instid1(VALU_DEP_1)
	v_fmamk_f64 v[12:13], v[8:9], 0xbfe62e42fefa39ef, v[2:3]
	v_fmamk_f64 v[12:13], v[8:9], 0xbc7abc9e3b39803f, v[12:13]
	v_cvt_i32_f64_e32 v8, v[8:9]
	s_delay_alu instid0(VALU_DEP_2) | instskip(SKIP_1) | instid1(VALU_DEP_1)
	v_fmaak_f64 v[14:15], s[2:3], v[12:13], 0x3e928af3fca7ab0c
	s_mov_b64 s[2:3], 0x3e45798ee2308c3a
	v_fmaak_f64 v[14:15], v[12:13], v[14:15], 0x3ec71dee623fde64
	s_delay_alu instid0(VALU_DEP_1) | instskip(NEXT) | instid1(VALU_DEP_1)
	v_fmaak_f64 v[14:15], v[12:13], v[14:15], 0x3efa01997c89e6b0
	v_fmaak_f64 v[14:15], v[12:13], v[14:15], 0x3f2a01a014761f6e
	s_delay_alu instid0(VALU_DEP_1) | instskip(NEXT) | instid1(VALU_DEP_1)
	v_fmaak_f64 v[14:15], v[12:13], v[14:15], 0x3f56c16c1852b7b0
	;; [unrolled: 3-line block ×4, first 2 shown]
	v_fma_f64 v[14:15], v[12:13], v[14:15], 1.0
	s_delay_alu instid0(VALU_DEP_1) | instskip(NEXT) | instid1(VALU_DEP_1)
	v_fma_f64 v[12:13], v[12:13], v[14:15], 1.0
	v_ldexp_f64 v[8:9], v[12:13], v8
	s_delay_alu instid0(VALU_DEP_1) | instskip(NEXT) | instid1(VALU_DEP_1)
	v_fmamk_f64 v[8:9], v[8:9], 0x40cdb64bf0c8c96b, v[20:21]
	v_cndmask_b32_e32 v9, 0x7ff00000, v9, vcc_lo
	s_and_b32 vcc_lo, s1, vcc_lo
	s_delay_alu instid0(VALU_DEP_2) | instskip(NEXT) | instid1(VALU_DEP_2)
	v_cndmask_b32_e32 v2, 0, v8, vcc_lo
	v_cndmask_b32_e64 v3, 0x3ff00000, v9, s1
	s_delay_alu instid0(VALU_DEP_1) | instskip(NEXT) | instid1(VALU_DEP_1)
	v_mul_f64_e32 v[2:3], v[2:3], v[2:3]
	v_div_scale_f64 v[8:9], null, v[2:3], v[2:3], 1.0
	s_delay_alu instid0(VALU_DEP_1) | instskip(SKIP_1) | instid1(TRANS32_DEP_1)
	v_rcp_f64_e32 v[12:13], v[8:9]
	v_nop
	v_fma_f64 v[14:15], -v[8:9], v[12:13], 1.0
	s_delay_alu instid0(VALU_DEP_1) | instskip(NEXT) | instid1(VALU_DEP_1)
	v_fmac_f64_e32 v[12:13], v[12:13], v[14:15]
	v_fma_f64 v[14:15], -v[8:9], v[12:13], 1.0
	s_delay_alu instid0(VALU_DEP_1) | instskip(SKIP_1) | instid1(VALU_DEP_1)
	v_fmac_f64_e32 v[12:13], v[12:13], v[14:15]
	v_div_scale_f64 v[14:15], vcc_lo, 1.0, v[2:3], 1.0
	v_mul_f64_e32 v[20:21], v[14:15], v[12:13]
	s_delay_alu instid0(VALU_DEP_1) | instskip(NEXT) | instid1(VALU_DEP_1)
	v_fma_f64 v[8:9], -v[8:9], v[20:21], v[14:15]
	v_div_fmas_f64 v[8:9], v[8:9], v[12:13], v[20:21]
	s_delay_alu instid0(VALU_DEP_1) | instskip(SKIP_2) | instid1(TRANS32_DEP_1)
	v_div_fixup_f64 v[2:3], v[8:9], v[2:3], 1.0
	v_rcp_f64_e32 v[8:9], v[6:7]
	v_nop
	v_fma_f64 v[12:13], -v[6:7], v[8:9], 1.0
	s_delay_alu instid0(VALU_DEP_1) | instskip(NEXT) | instid1(VALU_DEP_1)
	v_fmac_f64_e32 v[8:9], v[8:9], v[12:13]
	v_fma_f64 v[12:13], -v[6:7], v[8:9], 1.0
	s_delay_alu instid0(VALU_DEP_1) | instskip(SKIP_1) | instid1(VALU_DEP_1)
	v_fmac_f64_e32 v[8:9], v[8:9], v[12:13]
	v_div_scale_f64 v[12:13], vcc_lo, 1.0, v[4:5], 1.0
	v_mul_f64_e32 v[14:15], v[12:13], v[8:9]
	s_delay_alu instid0(VALU_DEP_1) | instskip(NEXT) | instid1(VALU_DEP_1)
	v_fma_f64 v[6:7], -v[6:7], v[14:15], v[12:13]
	v_div_fmas_f64 v[6:7], v[6:7], v[8:9], v[14:15]
	s_delay_alu instid0(VALU_DEP_1) | instskip(SKIP_1) | instid1(VALU_DEP_1)
	v_div_fixup_f64 v[6:7], v[6:7], v[4:5], 1.0
	v_add_f64_e64 v[4:5], v[2:3], -v[84:85]
	v_div_scale_f64 v[8:9], null, v[6:7], v[6:7], v[4:5]
	s_delay_alu instid0(VALU_DEP_1) | instskip(SKIP_1) | instid1(TRANS32_DEP_1)
	v_rcp_f64_e32 v[12:13], v[8:9]
	v_nop
	v_fma_f64 v[14:15], -v[8:9], v[12:13], 1.0
	s_delay_alu instid0(VALU_DEP_1) | instskip(NEXT) | instid1(VALU_DEP_1)
	v_fmac_f64_e32 v[12:13], v[12:13], v[14:15]
	v_fma_f64 v[14:15], -v[8:9], v[12:13], 1.0
	s_delay_alu instid0(VALU_DEP_1) | instskip(SKIP_1) | instid1(VALU_DEP_1)
	v_fmac_f64_e32 v[12:13], v[12:13], v[14:15]
	v_div_scale_f64 v[14:15], vcc_lo, v[4:5], v[6:7], v[4:5]
	v_mul_f64_e32 v[20:21], v[14:15], v[12:13]
	s_delay_alu instid0(VALU_DEP_1) | instskip(NEXT) | instid1(VALU_DEP_1)
	v_fma_f64 v[8:9], -v[8:9], v[20:21], v[14:15]
	v_div_fmas_f64 v[8:9], v[8:9], v[12:13], v[20:21]
	s_delay_alu instid0(VALU_DEP_1) | instskip(SKIP_1) | instid1(VALU_DEP_1)
	v_div_fixup_f64 v[4:5], v[8:9], v[6:7], v[4:5]
	v_div_scale_f64 v[8:9], null, v[6:7], v[6:7], -1.0
	v_rcp_f64_e32 v[12:13], v[8:9]
	v_nop
	s_delay_alu instid0(TRANS32_DEP_1) | instskip(NEXT) | instid1(VALU_DEP_1)
	v_fma_f64 v[14:15], -v[8:9], v[12:13], 1.0
	v_fmac_f64_e32 v[12:13], v[12:13], v[14:15]
	s_delay_alu instid0(VALU_DEP_1) | instskip(NEXT) | instid1(VALU_DEP_1)
	v_fma_f64 v[14:15], -v[8:9], v[12:13], 1.0
	v_fmac_f64_e32 v[12:13], v[12:13], v[14:15]
	v_div_scale_f64 v[14:15], vcc_lo, -1.0, v[6:7], -1.0
	s_delay_alu instid0(VALU_DEP_1) | instskip(NEXT) | instid1(VALU_DEP_1)
	v_mul_f64_e32 v[20:21], v[14:15], v[12:13]
	v_fma_f64 v[8:9], -v[8:9], v[20:21], v[14:15]
	s_delay_alu instid0(VALU_DEP_1) | instskip(NEXT) | instid1(VALU_DEP_1)
	v_div_fmas_f64 v[8:9], v[8:9], v[12:13], v[20:21]
                                        ; implicit-def: $vgpr12_vgpr13
	v_div_fixup_f64 v[6:7], v[8:9], v[6:7], -1.0
	s_delay_alu instid0(VALU_DEP_1) | instskip(SKIP_1) | instid1(SALU_CYCLE_1)
	v_cmp_ngt_f64_e64 s1, |v[6:7]|, s[2:3]
	s_and_saveexec_b32 s2, s1
	s_xor_b32 s1, exec_lo, s2
; %bb.24:
	v_mul_f64_e32 v[12:13], s[12:13], v[4:5]
                                        ; implicit-def: $vgpr6_vgpr7
                                        ; implicit-def: $vgpr4_vgpr5
; %bb.25:
	s_or_saveexec_b32 s2, s1
	v_lshl_add_u64 v[8:9], v[28:29], 3, s[8:9]
	s_xor_b32 exec_lo, exec_lo, s2
	s_cbranch_execz .LBB0_27
; %bb.26:
	v_mul_f64_e32 v[12:13], s[12:13], v[6:7]
	s_mov_b64 s[4:5], 0x3e5ade156a5dcb37
	s_delay_alu instid0(VALU_DEP_1) | instskip(SKIP_2) | instid1(VALU_DEP_3)
	v_mul_f64_e32 v[14:15], 0x3ff71547652b82fe, v[12:13]
	v_cmp_nlt_f64_e32 vcc_lo, 0x40900000, v[12:13]
	v_cmp_ngt_f64_e64 s1, 0xc090cc00, v[12:13]
	v_rndne_f64_e32 v[14:15], v[14:15]
	s_delay_alu instid0(VALU_DEP_1) | instskip(SKIP_1) | instid1(VALU_DEP_2)
	v_fmamk_f64 v[20:21], v[14:15], 0xbfe62e42fefa39ef, v[12:13]
	v_cvt_i32_f64_e32 v10, v[14:15]
	v_fmamk_f64 v[20:21], v[14:15], 0xbc7abc9e3b39803f, v[20:21]
	s_delay_alu instid0(VALU_DEP_1) | instskip(NEXT) | instid1(VALU_DEP_1)
	v_fmaak_f64 v[28:29], s[4:5], v[20:21], 0x3e928af3fca7ab0c
	v_fmaak_f64 v[28:29], v[20:21], v[28:29], 0x3ec71dee623fde64
	s_delay_alu instid0(VALU_DEP_1) | instskip(NEXT) | instid1(VALU_DEP_1)
	v_fmaak_f64 v[28:29], v[20:21], v[28:29], 0x3efa01997c89e6b0
	v_fmaak_f64 v[28:29], v[20:21], v[28:29], 0x3f2a01a014761f6e
	;; [unrolled: 3-line block ×4, first 2 shown]
	s_delay_alu instid0(VALU_DEP_1) | instskip(NEXT) | instid1(VALU_DEP_1)
	v_fmaak_f64 v[28:29], v[20:21], v[28:29], 0x3fe000000000000b
	v_fma_f64 v[28:29], v[20:21], v[28:29], 1.0
	s_delay_alu instid0(VALU_DEP_1) | instskip(NEXT) | instid1(VALU_DEP_1)
	v_fma_f64 v[14:15], v[20:21], v[28:29], 1.0
	v_ldexp_f64 v[14:15], v[14:15], v10
	s_delay_alu instid0(VALU_DEP_1) | instskip(NEXT) | instid1(VALU_DEP_1)
	v_add_f64_e32 v[14:15], -1.0, v[14:15]
	v_cndmask_b32_e32 v10, 0x7ff00000, v15, vcc_lo
	s_and_b32 vcc_lo, s1, vcc_lo
	s_delay_alu instid0(VALU_DEP_2) | instskip(NEXT) | instid1(VALU_DEP_2)
	v_cndmask_b32_e32 v12, 0, v14, vcc_lo
	v_cndmask_b32_e64 v13, 0xbff00000, v10, s1
	s_delay_alu instid0(VALU_DEP_1) | instskip(NEXT) | instid1(VALU_DEP_1)
	v_mul_f64_e32 v[4:5], v[4:5], v[12:13]
	v_div_scale_f64 v[12:13], null, v[6:7], v[6:7], v[4:5]
	s_delay_alu instid0(VALU_DEP_1) | instskip(SKIP_1) | instid1(TRANS32_DEP_1)
	v_rcp_f64_e32 v[14:15], v[12:13]
	v_nop
	v_fma_f64 v[20:21], -v[12:13], v[14:15], 1.0
	s_delay_alu instid0(VALU_DEP_1) | instskip(NEXT) | instid1(VALU_DEP_1)
	v_fmac_f64_e32 v[14:15], v[14:15], v[20:21]
	v_fma_f64 v[20:21], -v[12:13], v[14:15], 1.0
	s_delay_alu instid0(VALU_DEP_1) | instskip(SKIP_1) | instid1(VALU_DEP_1)
	v_fmac_f64_e32 v[14:15], v[14:15], v[20:21]
	v_div_scale_f64 v[20:21], vcc_lo, v[4:5], v[6:7], v[4:5]
	v_mul_f64_e32 v[28:29], v[20:21], v[14:15]
	s_delay_alu instid0(VALU_DEP_1) | instskip(NEXT) | instid1(VALU_DEP_1)
	v_fma_f64 v[12:13], -v[12:13], v[28:29], v[20:21]
	v_div_fmas_f64 v[12:13], v[12:13], v[14:15], v[28:29]
	s_delay_alu instid0(VALU_DEP_1)
	v_div_fixup_f64 v[12:13], v[12:13], v[6:7], v[4:5]
.LBB0_27:
	s_or_b32 exec_lo, exec_lo, s2
	s_delay_alu instid0(VALU_DEP_1)
	v_dual_add_f64 v[4:5], v[84:85], v[12:13] :: v_dual_ashrrev_i32 v95, 31, v94
	v_mov_b64_e32 v[14:15], 0x3fad2f1a9fbe76c9
	v_mov_b64_e32 v[6:7], 0x3fe3333333333333
	;; [unrolled: 1-line block ×3, first 2 shown]
	global_store_b64 v[8:9], v[4:5], off
	s_wait_xcnt 0x0
	v_mov_b64_e32 v[4:5], 0
	v_mov_b64_e32 v[8:9], 0x3fa4dec899fffb45
	s_and_saveexec_b32 s3, s0
	s_cbranch_execz .LBB0_29
; %bb.28:
	v_mul_f64_e32 v[4:5], 0x3fcf487fcb923a2a, v[0:1]
	v_mul_f64_e32 v[6:7], 0xbfa67b5f1bef49cf, v[0:1]
	;; [unrolled: 1-line block ×3, first 2 shown]
	v_mov_b64_e32 v[44:45], 0x3e928af3fca7ab0c
	v_mov_b64_e32 v[58:59], 0x3ec71dee623fde64
	v_mul_f64_e32 v[12:13], 0x3ff71547652b82fe, v[4:5]
	v_mul_f64_e32 v[14:15], 0x3ff71547652b82fe, v[6:7]
	;; [unrolled: 1-line block ×3, first 2 shown]
	v_cmp_nlt_f64_e32 vcc_lo, 0x40900000, v[4:5]
	v_cmp_nlt_f64_e64 s1, 0x40900000, v[6:7]
	v_cmp_ngt_f64_e64 s0, 0xc090cc00, v[4:5]
	v_cmp_ngt_f64_e64 s2, 0xc090cc00, v[6:7]
	v_rndne_f64_e32 v[12:13], v[12:13]
	v_rndne_f64_e32 v[14:15], v[14:15]
	;; [unrolled: 1-line block ×3, first 2 shown]
	s_delay_alu instid0(VALU_DEP_3) | instskip(NEXT) | instid1(VALU_DEP_3)
	v_fmamk_f64 v[28:29], v[12:13], 0xbfe62e42fefa39ef, v[4:5]
	v_fmamk_f64 v[32:33], v[14:15], 0xbfe62e42fefa39ef, v[6:7]
	s_delay_alu instid0(VALU_DEP_3)
	v_fmamk_f64 v[42:43], v[20:21], 0xbfe62e42fefa39ef, v[8:9]
	v_cvt_i32_f64_e32 v10, v[12:13]
	v_cvt_i32_f64_e32 v11, v[14:15]
	v_fmac_f64_e32 v[28:29], 0xbc7abc9e3b39803f, v[12:13]
	v_fmac_f64_e32 v[32:33], 0xbc7abc9e3b39803f, v[14:15]
	;; [unrolled: 1-line block ×3, first 2 shown]
	s_delay_alu instid0(VALU_DEP_3) | instskip(NEXT) | instid1(VALU_DEP_3)
	v_fmamk_f64 v[46:47], v[28:29], 0x3e5ade156a5dcb37, v[44:45]
	v_fmamk_f64 v[54:55], v[32:33], 0x3e5ade156a5dcb37, v[44:45]
	s_delay_alu instid0(VALU_DEP_3) | instskip(NEXT) | instid1(VALU_DEP_3)
	v_fmac_f64_e32 v[44:45], 0x3e5ade156a5dcb37, v[42:43]
	v_fmaak_f64 v[46:47], v[28:29], v[46:47], 0x3ec71dee623fde64
	s_delay_alu instid0(VALU_DEP_3) | instskip(NEXT) | instid1(VALU_DEP_2)
	v_fmaak_f64 v[54:55], v[32:33], v[54:55], 0x3ec71dee623fde64
	v_fmaak_f64 v[46:47], v[28:29], v[46:47], 0x3efa01997c89e6b0
	s_delay_alu instid0(VALU_DEP_2) | instskip(NEXT) | instid1(VALU_DEP_2)
	v_fmaak_f64 v[54:55], v[32:33], v[54:55], 0x3efa01997c89e6b0
	v_fmaak_f64 v[46:47], v[28:29], v[46:47], 0x3f2a01a014761f6e
	s_delay_alu instid0(VALU_DEP_2) | instskip(SKIP_2) | instid1(VALU_DEP_1)
	v_fmaak_f64 v[54:55], v[32:33], v[54:55], 0x3f2a01a014761f6e
	v_fmac_f64_e32 v[58:59], v[42:43], v[44:45]
	v_mov_b64_e32 v[44:45], 0x3efa01997c89e6b0
	v_fmac_f64_e32 v[44:45], v[42:43], v[58:59]
	v_mov_b64_e32 v[58:59], 0x3f2a01a014761f6e
	s_delay_alu instid0(VALU_DEP_1) | instskip(SKIP_1) | instid1(VALU_DEP_1)
	v_fmac_f64_e32 v[58:59], v[42:43], v[44:45]
	v_mov_b64_e32 v[44:45], 0x3f56c16c1852b7b0
	v_fmac_f64_e32 v[44:45], v[42:43], v[58:59]
	v_mov_b64_e32 v[58:59], 0x3f81111111122322
	s_delay_alu instid0(VALU_DEP_1) | instskip(SKIP_3) | instid1(VALU_DEP_3)
	v_fmac_f64_e32 v[58:59], v[42:43], v[44:45]
	v_fmaak_f64 v[44:45], v[28:29], v[46:47], 0x3f56c16c1852b7b0
	v_fmaak_f64 v[46:47], v[32:33], v[54:55], 0x3f56c16c1852b7b0
	v_mov_b64_e32 v[54:55], 0x3fa55555555502a1
	v_fmaak_f64 v[44:45], v[28:29], v[44:45], 0x3f81111111122322
	s_delay_alu instid0(VALU_DEP_3) | instskip(NEXT) | instid1(VALU_DEP_2)
	v_fmaak_f64 v[46:47], v[32:33], v[46:47], 0x3f81111111122322
	v_fmaak_f64 v[44:45], v[28:29], v[44:45], 0x3fa55555555502a1
	s_delay_alu instid0(VALU_DEP_2) | instskip(NEXT) | instid1(VALU_DEP_2)
	v_fmaak_f64 v[46:47], v[32:33], v[46:47], 0x3fa55555555502a1
	v_fmaak_f64 v[44:45], v[28:29], v[44:45], 0x3fc5555555555511
	s_delay_alu instid0(VALU_DEP_2) | instskip(NEXT) | instid1(VALU_DEP_2)
	v_fmaak_f64 v[46:47], v[32:33], v[46:47], 0x3fc5555555555511
	v_fmaak_f64 v[44:45], v[28:29], v[44:45], 0x3fe000000000000b
	s_delay_alu instid0(VALU_DEP_2) | instskip(SKIP_2) | instid1(VALU_DEP_4)
	v_fmaak_f64 v[46:47], v[32:33], v[46:47], 0x3fe000000000000b
	v_fmac_f64_e32 v[54:55], v[42:43], v[58:59]
	v_mov_b64_e32 v[58:59], 0x3fc5555555555511
	v_fma_f64 v[44:45], v[28:29], v[44:45], 1.0
	s_delay_alu instid0(VALU_DEP_4) | instskip(NEXT) | instid1(VALU_DEP_3)
	v_fma_f64 v[46:47], v[32:33], v[46:47], 1.0
	v_fmac_f64_e32 v[58:59], v[42:43], v[54:55]
	s_delay_alu instid0(VALU_DEP_3) | instskip(NEXT) | instid1(VALU_DEP_3)
	v_fma_f64 v[12:13], v[28:29], v[44:45], 1.0
	v_fma_f64 v[14:15], v[32:33], v[46:47], 1.0
	v_mov_b64_e32 v[28:29], 0x3fe000000000000b
	s_delay_alu instid0(VALU_DEP_1) | instskip(NEXT) | instid1(VALU_DEP_4)
	v_fmac_f64_e32 v[28:29], v[42:43], v[58:59]
	v_ldexp_f64 v[12:13], v[12:13], v10
	s_delay_alu instid0(VALU_DEP_4) | instskip(SKIP_1) | instid1(VALU_DEP_4)
	v_ldexp_f64 v[14:15], v[14:15], v11
	v_cvt_i32_f64_e32 v10, v[20:21]
	v_fma_f64 v[28:29], v[42:43], v[28:29], 1.0
	s_delay_alu instid0(VALU_DEP_4) | instskip(NEXT) | instid1(VALU_DEP_4)
	v_mul_f64_e32 v[12:13], 0xc0d8d500, v[12:13]
	v_mul_f64_e32 v[14:15], 0x3edd245bb28be17e, v[14:15]
	s_delay_alu instid0(VALU_DEP_3) | instskip(NEXT) | instid1(VALU_DEP_3)
	v_fma_f64 v[20:21], v[42:43], v[28:29], 1.0
	v_cndmask_b32_e32 v11, 0xfff00000, v13, vcc_lo
	s_delay_alu instid0(VALU_DEP_3) | instskip(SKIP_3) | instid1(VALU_DEP_2)
	v_cndmask_b32_e64 v13, 0x7ff00000, v15, s1
	s_and_b32 vcc_lo, s0, vcc_lo
	v_cndmask_b32_e32 v6, 0, v12, vcc_lo
	s_and_b32 vcc_lo, s2, s1
	v_cndmask_b32_e64 v13, 0, v13, s2
	v_cndmask_b32_e64 v7, 0x80000000, v11, s0
	v_cndmask_b32_e32 v12, 0, v14, vcc_lo
	v_add_f64_e32 v[14:15], 0x4042e3d70a3d70a4, v[0:1]
	v_cmp_nlt_f64_e32 vcc_lo, 0x40900000, v[8:9]
	v_cmp_ngt_f64_e64 s0, 0xc090cc00, v[8:9]
	s_delay_alu instid0(VALU_DEP_4) | instskip(SKIP_2) | instid1(VALU_DEP_3)
	v_add_f64_e64 v[6:7], v[6:7], -v[12:13]
	v_mov_b64_e32 v[12:13], 1.0
	v_ldexp_f64 v[4:5], v[20:21], v10
	v_mul_f64_e32 v[6:7], v[14:15], v[6:7]
	s_delay_alu instid0(VALU_DEP_2) | instskip(NEXT) | instid1(VALU_DEP_1)
	v_fmamk_f64 v[4:5], v[4:5], 0x422767c945c3e873, v[12:13]
	v_cndmask_b32_e32 v5, 0x7ff00000, v5, vcc_lo
	s_and_b32 vcc_lo, s0, vcc_lo
	s_delay_alu instid0(VALU_DEP_2) | instskip(NEXT) | instid1(VALU_DEP_2)
	v_cndmask_b32_e32 v4, 0, v4, vcc_lo
	v_cndmask_b32_e64 v5, 0x3ff00000, v5, s0
	s_delay_alu instid0(VALU_DEP_1) | instskip(NEXT) | instid1(VALU_DEP_1)
	v_div_scale_f64 v[8:9], null, v[4:5], v[4:5], v[6:7]
	v_rcp_f64_e32 v[12:13], v[8:9]
	v_nop
	s_delay_alu instid0(TRANS32_DEP_1) | instskip(NEXT) | instid1(VALU_DEP_1)
	v_fma_f64 v[14:15], -v[8:9], v[12:13], 1.0
	v_fmac_f64_e32 v[12:13], v[12:13], v[14:15]
	s_delay_alu instid0(VALU_DEP_1) | instskip(NEXT) | instid1(VALU_DEP_1)
	v_fma_f64 v[14:15], -v[8:9], v[12:13], 1.0
	v_fmac_f64_e32 v[12:13], v[12:13], v[14:15]
	v_div_scale_f64 v[14:15], vcc_lo, v[6:7], v[4:5], v[6:7]
	s_delay_alu instid0(VALU_DEP_1) | instskip(NEXT) | instid1(VALU_DEP_1)
	v_mul_f64_e32 v[20:21], v[14:15], v[12:13]
	v_fma_f64 v[8:9], -v[8:9], v[20:21], v[14:15]
	v_mov_b64_e32 v[14:15], 0xbf858b827fa1a0cf
	s_delay_alu instid0(VALU_DEP_2) | instskip(SKIP_1) | instid1(VALU_DEP_2)
	v_div_fmas_f64 v[8:9], v[8:9], v[12:13], v[20:21]
	v_mov_b64_e32 v[12:13], 0xbfc1a36e2eb1c433
	v_div_fixup_f64 v[4:5], v[8:9], v[4:5], v[6:7]
	v_mov_b64_e32 v[6:7], 0x3f98d25edd052935
	v_mov_b64_e32 v[8:9], 0x3f7039457fbd086c
.LBB0_29:
	s_or_b32 exec_lo, exec_lo, s3
	v_mul_f64_e32 v[14:15], v[0:1], v[14:15]
	v_mov_b64_e32 v[44:45], 0x3e928af3fca7ab0c
	v_mov_b64_e32 v[54:55], 0x3ec71dee623fde64
	s_delay_alu instid0(VALU_DEP_3) | instskip(SKIP_3) | instid1(VALU_DEP_3)
	v_cmp_ngt_f64_e64 s0, 0xc090cc00, v[14:15]
	v_mul_f64_e32 v[12:13], v[0:1], v[12:13]
	v_mul_f64_e32 v[20:21], 0x3ff71547652b82fe, v[14:15]
	v_cmp_nlt_f64_e32 vcc_lo, 0x40900000, v[14:15]
	v_mul_f64_e32 v[28:29], 0x3ff71547652b82fe, v[12:13]
	s_delay_alu instid0(VALU_DEP_3) | instskip(NEXT) | instid1(VALU_DEP_2)
	v_rndne_f64_e32 v[20:21], v[20:21]
	v_rndne_f64_e32 v[28:29], v[28:29]
	s_delay_alu instid0(VALU_DEP_2) | instskip(SKIP_1) | instid1(VALU_DEP_2)
	v_fmamk_f64 v[32:33], v[20:21], 0xbfe62e42fefa39ef, v[14:15]
	v_cvt_i32_f64_e32 v10, v[20:21]
	v_fmac_f64_e32 v[32:33], 0xbc7abc9e3b39803f, v[20:21]
	s_delay_alu instid0(VALU_DEP_4) | instskip(SKIP_1) | instid1(VALU_DEP_2)
	v_fmamk_f64 v[42:43], v[28:29], 0xbfe62e42fefa39ef, v[12:13]
	v_cvt_i32_f64_e32 v11, v[28:29]
	v_fmac_f64_e32 v[42:43], 0xbc7abc9e3b39803f, v[28:29]
	s_delay_alu instid0(VALU_DEP_4) | instskip(NEXT) | instid1(VALU_DEP_2)
	v_fmamk_f64 v[46:47], v[32:33], 0x3e5ade156a5dcb37, v[44:45]
	v_fmac_f64_e32 v[44:45], 0x3e5ade156a5dcb37, v[42:43]
	s_delay_alu instid0(VALU_DEP_1) | instskip(SKIP_1) | instid1(VALU_DEP_1)
	v_fmac_f64_e32 v[54:55], v[42:43], v[44:45]
	v_mov_b64_e32 v[44:45], 0x3efa01997c89e6b0
	v_fmac_f64_e32 v[44:45], v[42:43], v[54:55]
	v_mov_b64_e32 v[54:55], 0x3f2a01a014761f6e
	s_delay_alu instid0(VALU_DEP_1) | instskip(SKIP_1) | instid1(VALU_DEP_1)
	v_fmac_f64_e32 v[54:55], v[42:43], v[44:45]
	v_mov_b64_e32 v[44:45], 0x3f56c16c1852b7b0
	v_fmac_f64_e32 v[44:45], v[42:43], v[54:55]
	v_mov_b64_e32 v[54:55], 0x3f81111111122322
	;; [unrolled: 5-line block ×3, first 2 shown]
	s_delay_alu instid0(VALU_DEP_1) | instskip(SKIP_2) | instid1(VALU_DEP_2)
	v_fmac_f64_e32 v[54:55], v[42:43], v[44:45]
	v_fmaak_f64 v[44:45], v[32:33], v[46:47], 0x3ec71dee623fde64
	v_mov_b64_e32 v[46:47], 0x3fe000000000000b
	v_fmaak_f64 v[44:45], v[32:33], v[44:45], 0x3efa01997c89e6b0
	s_delay_alu instid0(VALU_DEP_1) | instskip(NEXT) | instid1(VALU_DEP_1)
	v_fmaak_f64 v[44:45], v[32:33], v[44:45], 0x3f2a01a014761f6e
	v_fmaak_f64 v[44:45], v[32:33], v[44:45], 0x3f56c16c1852b7b0
	s_delay_alu instid0(VALU_DEP_1) | instskip(SKIP_1) | instid1(VALU_DEP_2)
	v_fmaak_f64 v[44:45], v[32:33], v[44:45], 0x3f81111111122322
	v_fmac_f64_e32 v[46:47], v[42:43], v[54:55]
	v_fmaak_f64 v[44:45], v[32:33], v[44:45], 0x3fa55555555502a1
	s_delay_alu instid0(VALU_DEP_1) | instskip(NEXT) | instid1(VALU_DEP_1)
	v_fmaak_f64 v[44:45], v[32:33], v[44:45], 0x3fc5555555555511
	v_fmaak_f64 v[44:45], v[32:33], v[44:45], 0x3fe000000000000b
	s_delay_alu instid0(VALU_DEP_1) | instskip(SKIP_1) | instid1(VALU_DEP_2)
	v_fma_f64 v[44:45], v[32:33], v[44:45], 1.0
	v_fma_f64 v[46:47], v[42:43], v[46:47], 1.0
	;; [unrolled: 1-line block ×3, first 2 shown]
	s_delay_alu instid0(VALU_DEP_2) | instskip(NEXT) | instid1(VALU_DEP_2)
	v_fma_f64 v[28:29], v[42:43], v[46:47], 1.0
	v_ldexp_f64 v[20:21], v[20:21], v10
	s_delay_alu instid0(VALU_DEP_2) | instskip(NEXT) | instid1(VALU_DEP_2)
	v_ldexp_f64 v[28:29], v[28:29], v11
	v_mul_f64_e32 v[6:7], v[20:21], v[6:7]
	s_delay_alu instid0(VALU_DEP_2) | instskip(NEXT) | instid1(VALU_DEP_2)
	v_fma_f64 v[8:9], v[28:29], v[8:9], 1.0
	v_cndmask_b32_e32 v7, 0x7ff00000, v7, vcc_lo
	s_and_b32 vcc_lo, s0, vcc_lo
	s_delay_alu instid0(VALU_DEP_1) | instid1(SALU_CYCLE_1)
	v_dual_cndmask_b32 v6, 0, v6, vcc_lo :: v_dual_cndmask_b32 v7, 0, v7, s0
	v_cmp_nlt_f64_e64 s1, 0x40900000, v[12:13]
	v_cmp_ngt_f64_e64 s2, 0xc090cc00, v[12:13]
	s_delay_alu instid0(VALU_DEP_2) | instskip(SKIP_2) | instid1(VALU_DEP_2)
	v_cndmask_b32_e64 v9, 0x7ff00000, v9, s1
	s_and_b32 vcc_lo, s2, s1
	v_cndmask_b32_e32 v8, 0, v8, vcc_lo
	v_cndmask_b32_e64 v9, 0x3ff00000, v9, s2
	s_delay_alu instid0(VALU_DEP_1) | instskip(SKIP_1) | instid1(VALU_DEP_2)
	v_div_scale_f64 v[12:13], null, v[8:9], v[8:9], v[6:7]
	v_div_scale_f64 v[28:29], vcc_lo, v[6:7], v[8:9], v[6:7]
	v_rcp_f64_e32 v[14:15], v[12:13]
	v_nop
	s_delay_alu instid0(TRANS32_DEP_1) | instskip(NEXT) | instid1(VALU_DEP_1)
	v_fma_f64 v[20:21], -v[12:13], v[14:15], 1.0
	v_fmac_f64_e32 v[14:15], v[14:15], v[20:21]
	s_delay_alu instid0(VALU_DEP_1) | instskip(NEXT) | instid1(VALU_DEP_1)
	v_fma_f64 v[20:21], -v[12:13], v[14:15], 1.0
	v_fmac_f64_e32 v[14:15], v[14:15], v[20:21]
	s_delay_alu instid0(VALU_DEP_1) | instskip(NEXT) | instid1(VALU_DEP_1)
	v_mul_f64_e32 v[20:21], v[28:29], v[14:15]
	v_fma_f64 v[12:13], -v[12:13], v[20:21], v[28:29]
	s_delay_alu instid0(VALU_DEP_1) | instskip(NEXT) | instid1(VALU_DEP_1)
	v_div_fmas_f64 v[12:13], v[12:13], v[14:15], v[20:21]
	v_div_fixup_f64 v[6:7], v[12:13], v[8:9], v[6:7]
	s_delay_alu instid0(VALU_DEP_1) | instskip(NEXT) | instid1(VALU_DEP_1)
	v_add_f64_e32 v[4:5], v[4:5], v[6:7]
	v_div_scale_f64 v[6:7], null, v[4:5], v[4:5], 1.0
	v_div_scale_f64 v[14:15], vcc_lo, 1.0, v[4:5], 1.0
	s_delay_alu instid0(VALU_DEP_2) | instskip(SKIP_1) | instid1(TRANS32_DEP_1)
	v_rcp_f64_e32 v[8:9], v[6:7]
	v_nop
	v_fma_f64 v[12:13], -v[6:7], v[8:9], 1.0
	s_delay_alu instid0(VALU_DEP_1) | instskip(NEXT) | instid1(VALU_DEP_1)
	v_fmac_f64_e32 v[8:9], v[8:9], v[12:13]
	v_fma_f64 v[12:13], -v[6:7], v[8:9], 1.0
	s_delay_alu instid0(VALU_DEP_1) | instskip(NEXT) | instid1(VALU_DEP_1)
	v_fmac_f64_e32 v[8:9], v[8:9], v[12:13]
	v_mul_f64_e32 v[12:13], v[14:15], v[8:9]
	s_delay_alu instid0(VALU_DEP_1) | instskip(NEXT) | instid1(VALU_DEP_1)
	v_fma_f64 v[6:7], -v[6:7], v[12:13], v[14:15]
	v_div_fmas_f64 v[6:7], v[6:7], v[8:9], v[12:13]
	v_add_f64_e64 v[8:9], v[2:3], -v[48:49]
	s_delay_alu instid0(VALU_DEP_2) | instskip(NEXT) | instid1(VALU_DEP_1)
	v_div_fixup_f64 v[4:5], v[6:7], v[4:5], 1.0
	v_div_scale_f64 v[2:3], null, v[4:5], v[4:5], v[8:9]
	v_div_scale_f64 v[6:7], null, v[4:5], v[4:5], -1.0
	v_div_scale_f64 v[32:33], vcc_lo, v[8:9], v[4:5], v[8:9]
	s_delay_alu instid0(VALU_DEP_3) | instskip(NEXT) | instid1(VALU_DEP_2)
	v_rcp_f64_e32 v[12:13], v[2:3]
	v_rcp_f64_e32 v[14:15], v[6:7]
	s_delay_alu instid0(TRANS32_DEP_2) | instskip(NEXT) | instid1(TRANS32_DEP_1)
	v_fma_f64 v[20:21], -v[2:3], v[12:13], 1.0
	v_fma_f64 v[28:29], -v[6:7], v[14:15], 1.0
	s_delay_alu instid0(VALU_DEP_2) | instskip(NEXT) | instid1(VALU_DEP_2)
	v_fmac_f64_e32 v[12:13], v[12:13], v[20:21]
	v_fmac_f64_e32 v[14:15], v[14:15], v[28:29]
	s_delay_alu instid0(VALU_DEP_2) | instskip(NEXT) | instid1(VALU_DEP_2)
	v_fma_f64 v[20:21], -v[2:3], v[12:13], 1.0
	v_fma_f64 v[28:29], -v[6:7], v[14:15], 1.0
	s_delay_alu instid0(VALU_DEP_2) | instskip(SKIP_1) | instid1(VALU_DEP_3)
	v_fmac_f64_e32 v[12:13], v[12:13], v[20:21]
	v_div_scale_f64 v[20:21], s0, -1.0, v[4:5], -1.0
	v_fmac_f64_e32 v[14:15], v[14:15], v[28:29]
	s_delay_alu instid0(VALU_DEP_3) | instskip(NEXT) | instid1(VALU_DEP_2)
	v_mul_f64_e32 v[28:29], v[32:33], v[12:13]
	v_mul_f64_e32 v[42:43], v[20:21], v[14:15]
	s_delay_alu instid0(VALU_DEP_2) | instskip(NEXT) | instid1(VALU_DEP_2)
	v_fma_f64 v[2:3], -v[2:3], v[28:29], v[32:33]
	v_fma_f64 v[6:7], -v[6:7], v[42:43], v[20:21]
	s_delay_alu instid0(VALU_DEP_2) | instskip(SKIP_2) | instid1(VALU_DEP_2)
	v_div_fmas_f64 v[12:13], v[2:3], v[12:13], v[28:29]
	s_mov_b32 vcc_lo, s0
	s_mov_b64 s[0:1], 0x3e45798ee2308c3a
	v_div_fmas_f64 v[2:3], v[6:7], v[14:15], v[42:43]
	s_delay_alu instid0(VALU_DEP_2) | instskip(NEXT) | instid1(VALU_DEP_2)
	v_div_fixup_f64 v[6:7], v[12:13], v[4:5], v[8:9]
                                        ; implicit-def: $vgpr8_vgpr9
	v_div_fixup_f64 v[2:3], v[2:3], v[4:5], -1.0
	s_delay_alu instid0(VALU_DEP_1) | instskip(SKIP_1) | instid1(SALU_CYCLE_1)
	v_cmp_ngt_f64_e64 s0, |v[2:3]|, s[0:1]
	s_and_saveexec_b32 s1, s0
	s_xor_b32 s0, exec_lo, s1
; %bb.30:
	v_mul_f64_e32 v[8:9], s[12:13], v[6:7]
                                        ; implicit-def: $vgpr2_vgpr3
                                        ; implicit-def: $vgpr6_vgpr7
; %bb.31:
	s_or_saveexec_b32 s1, s0
	v_ashrrev_i32_e32 v79, 31, v78
	v_lshl_add_u64 v[4:5], v[94:95], 3, s[8:9]
	s_xor_b32 exec_lo, exec_lo, s1
	s_cbranch_execz .LBB0_33
; %bb.32:
	v_mul_f64_e32 v[8:9], s[12:13], v[2:3]
	s_mov_b64 s[2:3], 0x3e5ade156a5dcb37
	s_delay_alu instid0(VALU_DEP_1) | instskip(SKIP_2) | instid1(VALU_DEP_3)
	v_mul_f64_e32 v[12:13], 0x3ff71547652b82fe, v[8:9]
	v_cmp_nlt_f64_e32 vcc_lo, 0x40900000, v[8:9]
	v_cmp_ngt_f64_e64 s0, 0xc090cc00, v[8:9]
	v_rndne_f64_e32 v[12:13], v[12:13]
	s_delay_alu instid0(VALU_DEP_1) | instskip(SKIP_1) | instid1(VALU_DEP_2)
	v_fmamk_f64 v[14:15], v[12:13], 0xbfe62e42fefa39ef, v[8:9]
	v_cvt_i32_f64_e32 v10, v[12:13]
	v_fmamk_f64 v[14:15], v[12:13], 0xbc7abc9e3b39803f, v[14:15]
	s_delay_alu instid0(VALU_DEP_1) | instskip(NEXT) | instid1(VALU_DEP_1)
	v_fmaak_f64 v[20:21], s[2:3], v[14:15], 0x3e928af3fca7ab0c
	v_fmaak_f64 v[20:21], v[14:15], v[20:21], 0x3ec71dee623fde64
	s_delay_alu instid0(VALU_DEP_1) | instskip(NEXT) | instid1(VALU_DEP_1)
	v_fmaak_f64 v[20:21], v[14:15], v[20:21], 0x3efa01997c89e6b0
	v_fmaak_f64 v[20:21], v[14:15], v[20:21], 0x3f2a01a014761f6e
	;; [unrolled: 3-line block ×4, first 2 shown]
	s_delay_alu instid0(VALU_DEP_1) | instskip(NEXT) | instid1(VALU_DEP_1)
	v_fmaak_f64 v[20:21], v[14:15], v[20:21], 0x3fe000000000000b
	v_fma_f64 v[20:21], v[14:15], v[20:21], 1.0
	s_delay_alu instid0(VALU_DEP_1) | instskip(NEXT) | instid1(VALU_DEP_1)
	v_fma_f64 v[12:13], v[14:15], v[20:21], 1.0
	v_ldexp_f64 v[12:13], v[12:13], v10
	s_delay_alu instid0(VALU_DEP_1) | instskip(NEXT) | instid1(VALU_DEP_1)
	v_add_f64_e32 v[12:13], -1.0, v[12:13]
	v_cndmask_b32_e32 v10, 0x7ff00000, v13, vcc_lo
	s_and_b32 vcc_lo, s0, vcc_lo
	s_delay_alu instid0(VALU_DEP_2) | instskip(NEXT) | instid1(VALU_DEP_2)
	v_cndmask_b32_e32 v8, 0, v12, vcc_lo
	v_cndmask_b32_e64 v9, 0xbff00000, v10, s0
	s_delay_alu instid0(VALU_DEP_1) | instskip(NEXT) | instid1(VALU_DEP_1)
	v_mul_f64_e32 v[6:7], v[6:7], v[8:9]
	v_div_scale_f64 v[8:9], null, v[2:3], v[2:3], v[6:7]
	s_delay_alu instid0(VALU_DEP_1) | instskip(SKIP_1) | instid1(TRANS32_DEP_1)
	v_rcp_f64_e32 v[12:13], v[8:9]
	v_nop
	v_fma_f64 v[14:15], -v[8:9], v[12:13], 1.0
	s_delay_alu instid0(VALU_DEP_1) | instskip(NEXT) | instid1(VALU_DEP_1)
	v_fmac_f64_e32 v[12:13], v[12:13], v[14:15]
	v_fma_f64 v[14:15], -v[8:9], v[12:13], 1.0
	s_delay_alu instid0(VALU_DEP_1) | instskip(SKIP_1) | instid1(VALU_DEP_1)
	v_fmac_f64_e32 v[12:13], v[12:13], v[14:15]
	v_div_scale_f64 v[14:15], vcc_lo, v[6:7], v[2:3], v[6:7]
	v_mul_f64_e32 v[20:21], v[14:15], v[12:13]
	s_delay_alu instid0(VALU_DEP_1) | instskip(NEXT) | instid1(VALU_DEP_1)
	v_fma_f64 v[8:9], -v[8:9], v[20:21], v[14:15]
	v_div_fmas_f64 v[8:9], v[8:9], v[12:13], v[20:21]
	s_delay_alu instid0(VALU_DEP_1)
	v_div_fixup_f64 v[8:9], v[8:9], v[2:3], v[6:7]
.LBB0_33:
	s_or_b32 exec_lo, exec_lo, s1
	s_delay_alu instid0(VALU_DEP_1)
	v_add_f64_e32 v[2:3], v[48:49], v[8:9]
	v_mov_b64_e32 v[46:47], 0x3e928af3fca7ab0c
	v_mov_b64_e32 v[58:59], 1.0
	v_mov_b64_e32 v[14:15], 0x3ec71dee623fde64
	v_mov_b64_e32 v[20:21], 0x3efa01997c89e6b0
	;; [unrolled: 1-line block ×7, first 2 shown]
	global_store_b64 v[4:5], v[2:3], off
	s_wait_xcnt 0x0
	v_mul_f64_e32 v[2:3], 0xbfc1111111111105, v[0:1]
	s_delay_alu instid0(VALU_DEP_1) | instskip(SKIP_1) | instid1(VALU_DEP_2)
	v_mul_f64_e32 v[4:5], 0x3ff71547652b82fe, v[2:3]
	v_cmp_ngt_f64_e64 s0, 0xc090cc00, v[2:3]
	v_rndne_f64_e32 v[4:5], v[4:5]
	s_delay_alu instid0(VALU_DEP_1) | instskip(NEXT) | instid1(VALU_DEP_1)
	v_fmamk_f64 v[42:43], v[4:5], 0xbfe62e42fefa39ef, v[2:3]
	v_fmac_f64_e32 v[42:43], 0xbc7abc9e3b39803f, v[4:5]
	v_cvt_i32_f64_e32 v4, v[4:5]
	s_delay_alu instid0(VALU_DEP_2) | instskip(NEXT) | instid1(VALU_DEP_1)
	v_fmamk_f64 v[6:7], v[42:43], 0x3e5ade156a5dcb37, v[46:47]
	v_fmaak_f64 v[6:7], v[42:43], v[6:7], 0x3ec71dee623fde64
	s_delay_alu instid0(VALU_DEP_1) | instskip(NEXT) | instid1(VALU_DEP_1)
	v_fmaak_f64 v[6:7], v[42:43], v[6:7], 0x3efa01997c89e6b0
	v_fmaak_f64 v[6:7], v[42:43], v[6:7], 0x3f2a01a014761f6e
	s_delay_alu instid0(VALU_DEP_1) | instskip(NEXT) | instid1(VALU_DEP_1)
	v_fmaak_f64 v[6:7], v[42:43], v[6:7], 0x3f56c16c1852b7b0
	;; [unrolled: 3-line block ×3, first 2 shown]
	v_fmaak_f64 v[54:55], v[42:43], v[6:7], 0x3fc5555555555511
	v_mov_b64_e32 v[6:7], 0x3fe000000000000b
	s_delay_alu instid0(VALU_DEP_2) | instskip(NEXT) | instid1(VALU_DEP_1)
	v_fmaak_f64 v[54:55], v[42:43], v[54:55], 0x3fe000000000000b
	v_fma_f64 v[54:55], v[42:43], v[54:55], 1.0
	s_delay_alu instid0(VALU_DEP_1) | instskip(NEXT) | instid1(VALU_DEP_1)
	v_fma_f64 v[42:43], v[42:43], v[54:55], 1.0
	v_ldexp_f64 v[4:5], v[42:43], v4
	s_delay_alu instid0(VALU_DEP_1) | instskip(NEXT) | instid1(VALU_DEP_1)
	v_fmamk_f64 v[4:5], v[4:5], 0x3fd6069d9ad86a7a, v[58:59]
	v_div_scale_f64 v[42:43], null, v[4:5], v[4:5], 1.0
	s_delay_alu instid0(VALU_DEP_1) | instskip(SKIP_1) | instid1(TRANS32_DEP_1)
	v_rcp_f64_e32 v[54:55], v[42:43]
	v_nop
	v_fma_f64 v[58:59], -v[42:43], v[54:55], 1.0
	s_delay_alu instid0(VALU_DEP_1) | instskip(NEXT) | instid1(VALU_DEP_1)
	v_fmac_f64_e32 v[54:55], v[54:55], v[58:59]
	v_fma_f64 v[58:59], -v[42:43], v[54:55], 1.0
	s_delay_alu instid0(VALU_DEP_1) | instskip(SKIP_1) | instid1(VALU_DEP_1)
	v_fmac_f64_e32 v[54:55], v[54:55], v[58:59]
	v_div_scale_f64 v[58:59], vcc_lo, 1.0, v[4:5], 1.0
	v_mul_f64_e32 v[60:61], v[58:59], v[54:55]
	s_delay_alu instid0(VALU_DEP_1) | instskip(NEXT) | instid1(VALU_DEP_1)
	v_fma_f64 v[42:43], -v[42:43], v[60:61], v[58:59]
	v_div_fmas_f64 v[42:43], v[42:43], v[54:55], v[60:61]
	v_cmp_nlt_f64_e32 vcc_lo, 0x40900000, v[2:3]
	s_delay_alu instid0(VALU_DEP_2) | instskip(NEXT) | instid1(VALU_DEP_1)
	v_div_fixup_f64 v[4:5], v[42:43], v[4:5], 1.0
	v_cndmask_b32_e32 v5, 0, v5, vcc_lo
	s_and_b32 vcc_lo, s0, vcc_lo
	s_delay_alu instid0(VALU_DEP_2) | instskip(NEXT) | instid1(VALU_DEP_2)
	v_cndmask_b32_e32 v2, 0, v4, vcc_lo
	v_cndmask_b32_e64 v3, 0x3ff00000, v5, s0
	v_div_scale_f64 v[4:5], null, 0xc02a0000, 0xc02a0000, v[0:1]
	s_mov_b64 s[0:1], 0x3ff6666666666666
	v_rcp_f64_e32 v[42:43], v[4:5]
	v_nop
	s_delay_alu instid0(TRANS32_DEP_1) | instskip(NEXT) | instid1(VALU_DEP_1)
	v_fma_f64 v[54:55], -v[4:5], v[42:43], 1.0
	v_fmac_f64_e32 v[42:43], v[42:43], v[54:55]
	s_delay_alu instid0(VALU_DEP_1) | instskip(NEXT) | instid1(VALU_DEP_1)
	v_fma_f64 v[54:55], -v[4:5], v[42:43], 1.0
	v_fmac_f64_e32 v[42:43], v[42:43], v[54:55]
	v_div_scale_f64 v[54:55], vcc_lo, v[0:1], 0xc02a0000, v[0:1]
	s_delay_alu instid0(VALU_DEP_1) | instskip(NEXT) | instid1(VALU_DEP_1)
	v_mul_f64_e32 v[58:59], v[54:55], v[42:43]
	v_fma_f64 v[4:5], -v[4:5], v[58:59], v[54:55]
	s_delay_alu instid0(VALU_DEP_1) | instskip(NEXT) | instid1(VALU_DEP_1)
	v_div_fmas_f64 v[4:5], v[4:5], v[42:43], v[58:59]
	v_div_fixup_f64 v[4:5], v[4:5], 0xc02a0000, v[0:1]
	s_delay_alu instid0(VALU_DEP_1) | instskip(NEXT) | instid1(VALU_DEP_1)
	v_add_f64_e32 v[4:5], 0xc00589d89d89d89e, v[4:5]
	v_mul_f64_e32 v[42:43], 0x3ff71547652b82fe, v[4:5]
	s_delay_alu instid0(VALU_DEP_1) | instskip(NEXT) | instid1(VALU_DEP_1)
	v_rndne_f64_e32 v[42:43], v[42:43]
	v_fmamk_f64 v[54:55], v[42:43], 0xbfe62e42fefa39ef, v[4:5]
	v_cvt_i32_f64_e32 v10, v[42:43]
	s_delay_alu instid0(VALU_DEP_2) | instskip(NEXT) | instid1(VALU_DEP_1)
	v_fmac_f64_e32 v[54:55], 0xbc7abc9e3b39803f, v[42:43]
	v_fmamk_f64 v[58:59], v[54:55], 0x3e5ade156a5dcb37, v[46:47]
	s_delay_alu instid0(VALU_DEP_1) | instskip(NEXT) | instid1(VALU_DEP_1)
	v_fmaak_f64 v[58:59], v[54:55], v[58:59], 0x3ec71dee623fde64
	v_fmaak_f64 v[58:59], v[54:55], v[58:59], 0x3efa01997c89e6b0
	s_delay_alu instid0(VALU_DEP_1) | instskip(NEXT) | instid1(VALU_DEP_1)
	v_fmaak_f64 v[58:59], v[54:55], v[58:59], 0x3f2a01a014761f6e
	v_fmaak_f64 v[58:59], v[54:55], v[58:59], 0x3f56c16c1852b7b0
	;; [unrolled: 3-line block ×4, first 2 shown]
	s_delay_alu instid0(VALU_DEP_1) | instskip(NEXT) | instid1(VALU_DEP_1)
	v_fma_f64 v[58:59], v[54:55], v[58:59], 1.0
	v_fma_f64 v[54:55], v[54:55], v[58:59], 1.0
	s_delay_alu instid0(VALU_DEP_1) | instskip(NEXT) | instid1(VALU_DEP_1)
	v_ldexp_f64 v[42:43], v[54:55], v10
	v_add_f64_e32 v[42:43], 1.0, v[42:43]
	s_delay_alu instid0(VALU_DEP_1) | instskip(NEXT) | instid1(VALU_DEP_1)
	v_div_scale_f64 v[54:55], null, v[42:43], v[42:43], s[0:1]
	v_rcp_f64_e32 v[58:59], v[54:55]
	v_nop
	s_delay_alu instid0(TRANS32_DEP_1) | instskip(NEXT) | instid1(VALU_DEP_1)
	v_fma_f64 v[60:61], -v[54:55], v[58:59], 1.0
	v_fmac_f64_e32 v[58:59], v[58:59], v[60:61]
	s_delay_alu instid0(VALU_DEP_1) | instskip(NEXT) | instid1(VALU_DEP_1)
	v_fma_f64 v[60:61], -v[54:55], v[58:59], 1.0
	v_fmac_f64_e32 v[58:59], v[58:59], v[60:61]
	v_div_scale_f64 v[60:61], vcc_lo, s[0:1], v[42:43], s[0:1]
	s_delay_alu instid0(VALU_DEP_1) | instskip(NEXT) | instid1(VALU_DEP_1)
	v_mul_f64_e32 v[68:69], v[60:61], v[58:59]
	v_fma_f64 v[54:55], -v[54:55], v[68:69], v[60:61]
	s_delay_alu instid0(VALU_DEP_1) | instskip(SKIP_1) | instid1(VALU_DEP_2)
	v_div_fmas_f64 v[54:55], v[54:55], v[58:59], v[68:69]
	v_cmp_nlt_f64_e32 vcc_lo, 0x40900000, v[4:5]
	v_div_fixup_f64 v[42:43], v[54:55], v[42:43], s[0:1]
	s_delay_alu instid0(VALU_DEP_1) | instskip(NEXT) | instid1(VALU_DEP_1)
	v_add_f64_e32 v[42:43], 0x3fd00000, v[42:43]
	v_cndmask_b32_e32 v10, 0, v42, vcc_lo
	s_delay_alu instid0(VALU_DEP_2) | instskip(SKIP_2) | instid1(VALU_DEP_2)
	v_cndmask_b32_e32 v11, 0x3fd00000, v43, vcc_lo
	v_add_f64_e32 v[42:43], 1.0, v[76:77]
	v_cmp_ngt_f64_e32 vcc_lo, 0xc090cc00, v[4:5]
	v_mul_f64_e32 v[54:55], 0x3ff71547652b82fe, v[42:43]
	v_cndmask_b32_e32 v4, 0x66666666, v10, vcc_lo
	v_cndmask_b32_e32 v5, 0x3ffa6666, v11, vcc_lo
	s_delay_alu instid0(VALU_DEP_3) | instskip(NEXT) | instid1(VALU_DEP_1)
	v_rndne_f64_e32 v[54:55], v[54:55]
	v_fmamk_f64 v[58:59], v[54:55], 0xbfe62e42fefa39ef, v[42:43]
	v_cvt_i32_f64_e32 v10, v[54:55]
	s_delay_alu instid0(VALU_DEP_2) | instskip(NEXT) | instid1(VALU_DEP_1)
	v_fmac_f64_e32 v[58:59], 0xbc7abc9e3b39803f, v[54:55]
	v_fmamk_f64 v[60:61], v[58:59], 0x3e5ade156a5dcb37, v[46:47]
	s_delay_alu instid0(VALU_DEP_1) | instskip(NEXT) | instid1(VALU_DEP_1)
	v_fmaak_f64 v[60:61], v[58:59], v[60:61], 0x3ec71dee623fde64
	v_fmaak_f64 v[60:61], v[58:59], v[60:61], 0x3efa01997c89e6b0
	s_delay_alu instid0(VALU_DEP_1) | instskip(NEXT) | instid1(VALU_DEP_1)
	v_fmaak_f64 v[60:61], v[58:59], v[60:61], 0x3f2a01a014761f6e
	v_fmaak_f64 v[60:61], v[58:59], v[60:61], 0x3f56c16c1852b7b0
	;; [unrolled: 3-line block ×4, first 2 shown]
	s_delay_alu instid0(VALU_DEP_1) | instskip(NEXT) | instid1(VALU_DEP_1)
	v_fma_f64 v[60:61], v[58:59], v[60:61], 1.0
	v_fma_f64 v[58:59], v[58:59], v[60:61], 1.0
	s_delay_alu instid0(VALU_DEP_1) | instskip(NEXT) | instid1(VALU_DEP_1)
	v_ldexp_f64 v[54:55], v[58:59], v10
	v_add_f64_e32 v[54:55], 1.0, v[54:55]
	s_delay_alu instid0(VALU_DEP_1) | instskip(NEXT) | instid1(VALU_DEP_1)
	v_div_scale_f64 v[58:59], null, v[54:55], v[54:55], s[0:1]
	v_rcp_f64_e32 v[60:61], v[58:59]
	v_nop
	s_delay_alu instid0(TRANS32_DEP_1) | instskip(NEXT) | instid1(VALU_DEP_1)
	v_fma_f64 v[68:69], -v[58:59], v[60:61], 1.0
	v_fmac_f64_e32 v[60:61], v[60:61], v[68:69]
	s_delay_alu instid0(VALU_DEP_1) | instskip(NEXT) | instid1(VALU_DEP_1)
	v_fma_f64 v[68:69], -v[58:59], v[60:61], 1.0
	v_fmac_f64_e32 v[60:61], v[60:61], v[68:69]
	v_div_scale_f64 v[68:69], vcc_lo, s[0:1], v[54:55], s[0:1]
	s_delay_alu instid0(VALU_DEP_1) | instskip(NEXT) | instid1(VALU_DEP_1)
	v_mul_f64_e32 v[94:95], v[68:69], v[60:61]
	v_fma_f64 v[58:59], -v[58:59], v[94:95], v[68:69]
	s_delay_alu instid0(VALU_DEP_1) | instskip(SKIP_1) | instid1(VALU_DEP_2)
	v_div_fmas_f64 v[58:59], v[58:59], v[60:61], v[94:95]
	v_cmp_nlt_f64_e32 vcc_lo, 0x40900000, v[42:43]
	v_div_fixup_f64 v[54:55], v[58:59], v[54:55], s[0:1]
	v_add_f64_e64 v[58:59], 0x40040000, -v[96:97]
	s_delay_alu instid0(VALU_DEP_2) | instskip(SKIP_1) | instid1(VALU_DEP_3)
	v_dual_cndmask_b32 v10, 0, v54 :: v_dual_cndmask_b32 v11, 0, v55
	v_cmp_ngt_f64_e32 vcc_lo, 0xc090cc00, v[42:43]
	v_mul_f64_e32 v[42:43], 0x3ff71547652b82fe, v[58:59]
	v_cmp_ngt_f64_e64 s0, 0xc090cc00, v[58:59]
	s_delay_alu instid0(VALU_DEP_4) | instskip(NEXT) | instid1(VALU_DEP_3)
	v_cndmask_b32_e32 v55, 0x3ff66666, v11, vcc_lo
	v_rndne_f64_e32 v[60:61], v[42:43]
	v_cndmask_b32_e32 v54, 0x66666666, v10, vcc_lo
	s_delay_alu instid0(VALU_DEP_2) | instskip(NEXT) | instid1(VALU_DEP_1)
	v_fmamk_f64 v[42:43], v[60:61], 0xbfe62e42fefa39ef, v[58:59]
	v_fmac_f64_e32 v[42:43], 0xbc7abc9e3b39803f, v[60:61]
	s_delay_alu instid0(VALU_DEP_1) | instskip(NEXT) | instid1(VALU_DEP_1)
	v_fmac_f64_e32 v[46:47], 0x3e5ade156a5dcb37, v[42:43]
	v_fmac_f64_e32 v[14:15], v[42:43], v[46:47]
	s_delay_alu instid0(VALU_DEP_1) | instskip(NEXT) | instid1(VALU_DEP_1)
	v_fmac_f64_e32 v[20:21], v[42:43], v[14:15]
	;; [unrolled: 3-line block ×4, first 2 shown]
	v_fmac_f64_e32 v[8:9], v[42:43], v[12:13]
	s_delay_alu instid0(VALU_DEP_1) | instskip(SKIP_1) | instid1(VALU_DEP_2)
	v_fmac_f64_e32 v[6:7], v[42:43], v[8:9]
	v_cvt_i32_f64_e32 v8, v[60:61]
	v_fma_f64 v[6:7], v[42:43], v[6:7], 1.0
	s_delay_alu instid0(VALU_DEP_1) | instskip(NEXT) | instid1(VALU_DEP_1)
	v_fma_f64 v[6:7], v[42:43], v[6:7], 1.0
	v_ldexp_f64 v[6:7], v[6:7], v8
	s_delay_alu instid0(VALU_DEP_1) | instskip(NEXT) | instid1(VALU_DEP_1)
	v_add_f64_e32 v[6:7], 1.0, v[6:7]
	v_div_scale_f64 v[8:9], null, v[6:7], v[6:7], 1.0
	s_delay_alu instid0(VALU_DEP_1) | instskip(SKIP_1) | instid1(TRANS32_DEP_1)
	v_rcp_f64_e32 v[12:13], v[8:9]
	v_nop
	v_fma_f64 v[14:15], -v[8:9], v[12:13], 1.0
	s_delay_alu instid0(VALU_DEP_1) | instskip(NEXT) | instid1(VALU_DEP_1)
	v_fmac_f64_e32 v[12:13], v[12:13], v[14:15]
	v_fma_f64 v[14:15], -v[8:9], v[12:13], 1.0
	s_delay_alu instid0(VALU_DEP_1) | instskip(SKIP_1) | instid1(VALU_DEP_1)
	v_fmac_f64_e32 v[12:13], v[12:13], v[14:15]
	v_div_scale_f64 v[14:15], vcc_lo, 1.0, v[6:7], 1.0
	v_mul_f64_e32 v[20:21], v[14:15], v[12:13]
	s_delay_alu instid0(VALU_DEP_1) | instskip(NEXT) | instid1(VALU_DEP_1)
	v_fma_f64 v[8:9], -v[8:9], v[20:21], v[14:15]
	v_div_fmas_f64 v[8:9], v[8:9], v[12:13], v[20:21]
	v_cmp_nlt_f64_e32 vcc_lo, 0x40900000, v[58:59]
	s_delay_alu instid0(VALU_DEP_2) | instskip(NEXT) | instid1(VALU_DEP_1)
	v_div_fixup_f64 v[6:7], v[8:9], v[6:7], 1.0
	v_cndmask_b32_e32 v7, 0, v7, vcc_lo
	s_and_b32 vcc_lo, s0, vcc_lo
	s_delay_alu instid0(VALU_DEP_2) | instskip(NEXT) | instid1(VALU_DEP_2)
	v_cndmask_b32_e32 v6, 0, v6, vcc_lo
	v_cndmask_b32_e64 v7, 0x3ff00000, v7, s0
	s_mov_b64 s[0:1], 0x3e45798ee2308c3a
	s_delay_alu instid0(VALU_DEP_1) | instskip(SKIP_3) | instid1(VALU_DEP_1)
	v_fmac_f64_e32 v[6:7], v[54:55], v[4:5]
	scratch_load_b64 v[4:5], off, off offset:24 ; 8-byte Folded Reload
	s_wait_loadcnt 0x0
	v_add_f64_e64 v[2:3], v[2:3], -v[4:5]
	v_div_scale_f64 v[4:5], null, v[6:7], v[6:7], v[2:3]
	s_delay_alu instid0(VALU_DEP_1) | instskip(SKIP_1) | instid1(TRANS32_DEP_1)
	v_rcp_f64_e32 v[8:9], v[4:5]
	v_nop
	v_fma_f64 v[12:13], -v[4:5], v[8:9], 1.0
	s_delay_alu instid0(VALU_DEP_1) | instskip(NEXT) | instid1(VALU_DEP_1)
	v_fmac_f64_e32 v[8:9], v[8:9], v[12:13]
	v_fma_f64 v[12:13], -v[4:5], v[8:9], 1.0
	s_delay_alu instid0(VALU_DEP_1) | instskip(SKIP_1) | instid1(VALU_DEP_1)
	v_fmac_f64_e32 v[8:9], v[8:9], v[12:13]
	v_div_scale_f64 v[12:13], vcc_lo, v[2:3], v[6:7], v[2:3]
	v_mul_f64_e32 v[14:15], v[12:13], v[8:9]
	s_delay_alu instid0(VALU_DEP_1) | instskip(NEXT) | instid1(VALU_DEP_1)
	v_fma_f64 v[4:5], -v[4:5], v[14:15], v[12:13]
	v_div_fmas_f64 v[4:5], v[4:5], v[8:9], v[14:15]
	s_delay_alu instid0(VALU_DEP_1) | instskip(SKIP_1) | instid1(VALU_DEP_1)
	v_div_fixup_f64 v[2:3], v[4:5], v[6:7], v[2:3]
	v_div_scale_f64 v[4:5], null, v[6:7], v[6:7], -1.0
	v_rcp_f64_e32 v[8:9], v[4:5]
	v_nop
	s_delay_alu instid0(TRANS32_DEP_1) | instskip(NEXT) | instid1(VALU_DEP_1)
	v_fma_f64 v[12:13], -v[4:5], v[8:9], 1.0
	v_fmac_f64_e32 v[8:9], v[8:9], v[12:13]
	s_delay_alu instid0(VALU_DEP_1) | instskip(NEXT) | instid1(VALU_DEP_1)
	v_fma_f64 v[12:13], -v[4:5], v[8:9], 1.0
	v_fmac_f64_e32 v[8:9], v[8:9], v[12:13]
	v_div_scale_f64 v[12:13], vcc_lo, -1.0, v[6:7], -1.0
	s_delay_alu instid0(VALU_DEP_1) | instskip(NEXT) | instid1(VALU_DEP_1)
	v_mul_f64_e32 v[14:15], v[12:13], v[8:9]
	v_fma_f64 v[4:5], -v[4:5], v[14:15], v[12:13]
	s_delay_alu instid0(VALU_DEP_1) | instskip(NEXT) | instid1(VALU_DEP_1)
	v_div_fmas_f64 v[4:5], v[4:5], v[8:9], v[14:15]
                                        ; implicit-def: $vgpr8_vgpr9
	v_div_fixup_f64 v[4:5], v[4:5], v[6:7], -1.0
	s_delay_alu instid0(VALU_DEP_1) | instskip(SKIP_2) | instid1(SALU_CYCLE_1)
	v_cmp_ngt_f64_e64 s0, |v[4:5]|, s[0:1]
	s_wait_xcnt 0x0
	s_and_saveexec_b32 s1, s0
	s_xor_b32 s0, exec_lo, s1
; %bb.34:
	v_mul_f64_e32 v[8:9], s[12:13], v[2:3]
                                        ; implicit-def: $vgpr4_vgpr5
                                        ; implicit-def: $vgpr2_vgpr3
; %bb.35:
	s_or_saveexec_b32 s1, s0
	v_ashrrev_i32_e32 v65, 31, v64
	v_lshl_add_u64 v[6:7], v[78:79], 3, s[8:9]
	s_xor_b32 exec_lo, exec_lo, s1
	s_cbranch_execz .LBB0_37
; %bb.36:
	v_mul_f64_e32 v[8:9], s[12:13], v[4:5]
	s_mov_b64 s[2:3], 0x3e5ade156a5dcb37
	s_delay_alu instid0(VALU_DEP_1) | instskip(SKIP_2) | instid1(VALU_DEP_3)
	v_mul_f64_e32 v[12:13], 0x3ff71547652b82fe, v[8:9]
	v_cmp_nlt_f64_e32 vcc_lo, 0x40900000, v[8:9]
	v_cmp_ngt_f64_e64 s0, 0xc090cc00, v[8:9]
	v_rndne_f64_e32 v[12:13], v[12:13]
	s_delay_alu instid0(VALU_DEP_1) | instskip(SKIP_1) | instid1(VALU_DEP_2)
	v_fmamk_f64 v[14:15], v[12:13], 0xbfe62e42fefa39ef, v[8:9]
	v_cvt_i32_f64_e32 v10, v[12:13]
	v_fmamk_f64 v[14:15], v[12:13], 0xbc7abc9e3b39803f, v[14:15]
	s_delay_alu instid0(VALU_DEP_1) | instskip(NEXT) | instid1(VALU_DEP_1)
	v_fmaak_f64 v[20:21], s[2:3], v[14:15], 0x3e928af3fca7ab0c
	v_fmaak_f64 v[20:21], v[14:15], v[20:21], 0x3ec71dee623fde64
	s_delay_alu instid0(VALU_DEP_1) | instskip(NEXT) | instid1(VALU_DEP_1)
	v_fmaak_f64 v[20:21], v[14:15], v[20:21], 0x3efa01997c89e6b0
	v_fmaak_f64 v[20:21], v[14:15], v[20:21], 0x3f2a01a014761f6e
	;; [unrolled: 3-line block ×4, first 2 shown]
	s_delay_alu instid0(VALU_DEP_1) | instskip(NEXT) | instid1(VALU_DEP_1)
	v_fmaak_f64 v[20:21], v[14:15], v[20:21], 0x3fe000000000000b
	v_fma_f64 v[20:21], v[14:15], v[20:21], 1.0
	s_delay_alu instid0(VALU_DEP_1) | instskip(NEXT) | instid1(VALU_DEP_1)
	v_fma_f64 v[12:13], v[14:15], v[20:21], 1.0
	v_ldexp_f64 v[12:13], v[12:13], v10
	s_delay_alu instid0(VALU_DEP_1) | instskip(NEXT) | instid1(VALU_DEP_1)
	v_add_f64_e32 v[12:13], -1.0, v[12:13]
	v_cndmask_b32_e32 v10, 0x7ff00000, v13, vcc_lo
	s_and_b32 vcc_lo, s0, vcc_lo
	s_delay_alu instid0(VALU_DEP_2) | instskip(NEXT) | instid1(VALU_DEP_2)
	v_cndmask_b32_e32 v8, 0, v12, vcc_lo
	v_cndmask_b32_e64 v9, 0xbff00000, v10, s0
	s_delay_alu instid0(VALU_DEP_1) | instskip(NEXT) | instid1(VALU_DEP_1)
	v_mul_f64_e32 v[2:3], v[2:3], v[8:9]
	v_div_scale_f64 v[8:9], null, v[4:5], v[4:5], v[2:3]
	s_delay_alu instid0(VALU_DEP_1) | instskip(SKIP_1) | instid1(TRANS32_DEP_1)
	v_rcp_f64_e32 v[12:13], v[8:9]
	v_nop
	v_fma_f64 v[14:15], -v[8:9], v[12:13], 1.0
	s_delay_alu instid0(VALU_DEP_1) | instskip(NEXT) | instid1(VALU_DEP_1)
	v_fmac_f64_e32 v[12:13], v[12:13], v[14:15]
	v_fma_f64 v[14:15], -v[8:9], v[12:13], 1.0
	s_delay_alu instid0(VALU_DEP_1) | instskip(SKIP_1) | instid1(VALU_DEP_1)
	v_fmac_f64_e32 v[12:13], v[12:13], v[14:15]
	v_div_scale_f64 v[14:15], vcc_lo, v[2:3], v[4:5], v[2:3]
	v_mul_f64_e32 v[20:21], v[14:15], v[12:13]
	s_delay_alu instid0(VALU_DEP_1) | instskip(NEXT) | instid1(VALU_DEP_1)
	v_fma_f64 v[8:9], -v[8:9], v[20:21], v[14:15]
	v_div_fmas_f64 v[8:9], v[8:9], v[12:13], v[20:21]
	s_delay_alu instid0(VALU_DEP_1)
	v_div_fixup_f64 v[8:9], v[8:9], v[4:5], v[2:3]
.LBB0_37:
	s_or_b32 exec_lo, exec_lo, s1
	scratch_load_b64 v[2:3], off, off offset:24 ; 8-byte Folded Reload
	v_mov_b64_e32 v[54:55], 0x3e928af3fca7ab0c
	v_mov_b64_e32 v[46:47], 0x3ec71dee623fde64
	;; [unrolled: 1-line block ×6, first 2 shown]
	s_wait_loadcnt 0x0
	v_add_f64_e32 v[2:3], v[2:3], v[8:9]
	v_mov_b64_e32 v[8:9], 0x3fa55555555502a1
	global_store_b64 v[6:7], v[2:3], off
	s_wait_xcnt 0x0
	v_add_f64_e32 v[2:3], 0x4006db6db6db6db7, v[72:73]
	s_delay_alu instid0(VALU_DEP_1) | instskip(SKIP_1) | instid1(VALU_DEP_2)
	v_mul_f64_e32 v[4:5], 0x3ff71547652b82fe, v[2:3]
	v_cmp_ngt_f64_e64 s0, 0xc090cc00, v[2:3]
	v_rndne_f64_e32 v[20:21], v[4:5]
	s_delay_alu instid0(VALU_DEP_1) | instskip(SKIP_1) | instid1(VALU_DEP_2)
	v_fmamk_f64 v[28:29], v[20:21], 0xbfe62e42fefa39ef, v[2:3]
	v_cvt_i32_f64_e32 v10, v[20:21]
	v_fmac_f64_e32 v[28:29], 0xbc7abc9e3b39803f, v[20:21]
	s_delay_alu instid0(VALU_DEP_1) | instskip(NEXT) | instid1(VALU_DEP_1)
	v_fmamk_f64 v[4:5], v[28:29], 0x3e5ade156a5dcb37, v[54:55]
	v_fmaak_f64 v[4:5], v[28:29], v[4:5], 0x3ec71dee623fde64
	s_delay_alu instid0(VALU_DEP_1) | instskip(NEXT) | instid1(VALU_DEP_1)
	v_fmaak_f64 v[4:5], v[28:29], v[4:5], 0x3efa01997c89e6b0
	v_fmaak_f64 v[4:5], v[28:29], v[4:5], 0x3f2a01a014761f6e
	s_delay_alu instid0(VALU_DEP_1) | instskip(NEXT) | instid1(VALU_DEP_1)
	v_fmaak_f64 v[4:5], v[28:29], v[4:5], 0x3f56c16c1852b7b0
	v_fmaak_f64 v[4:5], v[28:29], v[4:5], 0x3f81111111122322
	s_delay_alu instid0(VALU_DEP_1) | instskip(SKIP_1) | instid1(VALU_DEP_2)
	v_fmaak_f64 v[6:7], v[28:29], v[4:5], 0x3fa55555555502a1
	v_mov_b64_e32 v[4:5], 0x3fc5555555555511
	v_fmaak_f64 v[42:43], v[28:29], v[6:7], 0x3fc5555555555511
	v_mov_b64_e32 v[6:7], 0x3fe000000000000b
	s_delay_alu instid0(VALU_DEP_2) | instskip(NEXT) | instid1(VALU_DEP_1)
	v_fmaak_f64 v[42:43], v[28:29], v[42:43], 0x3fe000000000000b
	v_fma_f64 v[42:43], v[28:29], v[42:43], 1.0
	s_delay_alu instid0(VALU_DEP_1) | instskip(NEXT) | instid1(VALU_DEP_1)
	v_fma_f64 v[28:29], v[28:29], v[42:43], 1.0
	v_ldexp_f64 v[20:21], v[28:29], v10
	s_delay_alu instid0(VALU_DEP_1) | instskip(NEXT) | instid1(VALU_DEP_1)
	v_add_f64_e32 v[20:21], 1.0, v[20:21]
	v_div_scale_f64 v[28:29], null, v[20:21], v[20:21], 1.0
	s_delay_alu instid0(VALU_DEP_1) | instskip(SKIP_1) | instid1(TRANS32_DEP_1)
	v_rcp_f64_e32 v[42:43], v[28:29]
	v_nop
	v_fma_f64 v[58:59], -v[28:29], v[42:43], 1.0
	s_delay_alu instid0(VALU_DEP_1) | instskip(NEXT) | instid1(VALU_DEP_1)
	v_fmac_f64_e32 v[42:43], v[42:43], v[58:59]
	v_fma_f64 v[58:59], -v[28:29], v[42:43], 1.0
	s_delay_alu instid0(VALU_DEP_1) | instskip(SKIP_1) | instid1(VALU_DEP_1)
	v_fmac_f64_e32 v[42:43], v[42:43], v[58:59]
	v_div_scale_f64 v[58:59], vcc_lo, 1.0, v[20:21], 1.0
	v_mul_f64_e32 v[60:61], v[58:59], v[42:43]
	s_delay_alu instid0(VALU_DEP_1) | instskip(NEXT) | instid1(VALU_DEP_1)
	v_fma_f64 v[28:29], -v[28:29], v[60:61], v[58:59]
	v_div_fmas_f64 v[28:29], v[28:29], v[42:43], v[60:61]
	v_cmp_nlt_f64_e32 vcc_lo, 0x40900000, v[2:3]
	s_delay_alu instid0(VALU_DEP_2) | instskip(NEXT) | instid1(VALU_DEP_1)
	v_div_fixup_f64 v[20:21], v[28:29], v[20:21], 1.0
	v_cndmask_b32_e32 v10, 0, v21, vcc_lo
	s_and_b32 vcc_lo, s0, vcc_lo
	s_delay_alu instid0(VALU_DEP_2) | instskip(SKIP_1) | instid1(VALU_DEP_3)
	v_cndmask_b32_e32 v2, 0, v20, vcc_lo
	v_add_f64_e32 v[20:21], 0x40080000, v[38:39]
	v_cndmask_b32_e64 v3, 0x3ff00000, v10, s0
	s_delay_alu instid0(VALU_DEP_2) | instskip(SKIP_2) | instid1(VALU_DEP_3)
	v_mul_f64_e32 v[28:29], 0x3ff71547652b82fe, v[20:21]
	v_cmp_nlt_f64_e32 vcc_lo, 0x40900000, v[20:21]
	v_cmp_ngt_f64_e64 s0, 0xc090cc00, v[20:21]
	v_rndne_f64_e32 v[28:29], v[28:29]
	s_delay_alu instid0(VALU_DEP_1) | instskip(SKIP_1) | instid1(VALU_DEP_2)
	v_fmamk_f64 v[42:43], v[28:29], 0xbfe62e42fefa39ef, v[20:21]
	v_cvt_i32_f64_e32 v10, v[28:29]
	v_fmac_f64_e32 v[42:43], 0xbc7abc9e3b39803f, v[28:29]
	s_delay_alu instid0(VALU_DEP_1) | instskip(NEXT) | instid1(VALU_DEP_1)
	v_fmamk_f64 v[58:59], v[42:43], 0x3e5ade156a5dcb37, v[54:55]
	v_fmaak_f64 v[58:59], v[42:43], v[58:59], 0x3ec71dee623fde64
	s_delay_alu instid0(VALU_DEP_1) | instskip(NEXT) | instid1(VALU_DEP_1)
	v_fmaak_f64 v[58:59], v[42:43], v[58:59], 0x3efa01997c89e6b0
	v_fmaak_f64 v[58:59], v[42:43], v[58:59], 0x3f2a01a014761f6e
	s_delay_alu instid0(VALU_DEP_1) | instskip(NEXT) | instid1(VALU_DEP_1)
	v_fmaak_f64 v[58:59], v[42:43], v[58:59], 0x3f56c16c1852b7b0
	v_fmaak_f64 v[58:59], v[42:43], v[58:59], 0x3f81111111122322
	s_delay_alu instid0(VALU_DEP_1) | instskip(NEXT) | instid1(VALU_DEP_1)
	v_fmaak_f64 v[58:59], v[42:43], v[58:59], 0x3fa55555555502a1
	v_fmaak_f64 v[58:59], v[42:43], v[58:59], 0x3fc5555555555511
	s_delay_alu instid0(VALU_DEP_1) | instskip(NEXT) | instid1(VALU_DEP_1)
	v_fmaak_f64 v[58:59], v[42:43], v[58:59], 0x3fe000000000000b
	v_fma_f64 v[58:59], v[42:43], v[58:59], 1.0
	s_delay_alu instid0(VALU_DEP_1) | instskip(NEXT) | instid1(VALU_DEP_1)
	v_fma_f64 v[42:43], v[42:43], v[58:59], 1.0
	v_ldexp_f64 v[28:29], v[42:43], v10
	s_delay_alu instid0(VALU_DEP_1) | instskip(NEXT) | instid1(VALU_DEP_1)
	v_add_f64_e32 v[28:29], 1.0, v[28:29]
	v_cndmask_b32_e32 v10, 0x7ff00000, v29, vcc_lo
	s_and_b32 vcc_lo, s0, vcc_lo
	s_delay_alu instid0(VALU_DEP_2) | instskip(NEXT) | instid1(VALU_DEP_2)
	v_cndmask_b32_e32 v20, 0, v28, vcc_lo
	v_cndmask_b32_e64 v21, 0x3ff00000, v10, s0
	s_mov_b64 s[0:1], 0x3ff4cccccccccccd
	s_delay_alu instid0(VALU_DEP_1) | instskip(NEXT) | instid1(VALU_DEP_1)
	v_div_scale_f64 v[28:29], null, v[20:21], v[20:21], 0x40668000
	v_rcp_f64_e32 v[42:43], v[28:29]
	v_nop
	s_delay_alu instid0(TRANS32_DEP_1) | instskip(NEXT) | instid1(VALU_DEP_1)
	v_fma_f64 v[58:59], -v[28:29], v[42:43], 1.0
	v_fmac_f64_e32 v[42:43], v[42:43], v[58:59]
	s_delay_alu instid0(VALU_DEP_1) | instskip(NEXT) | instid1(VALU_DEP_1)
	v_fma_f64 v[58:59], -v[28:29], v[42:43], 1.0
	v_fmac_f64_e32 v[42:43], v[42:43], v[58:59]
	v_div_scale_f64 v[58:59], vcc_lo, 0x40668000, v[20:21], 0x40668000
	s_delay_alu instid0(VALU_DEP_1) | instskip(NEXT) | instid1(VALU_DEP_1)
	v_mul_f64_e32 v[60:61], v[58:59], v[42:43]
	v_fma_f64 v[28:29], -v[28:29], v[60:61], v[58:59]
	v_add_f64_e64 v[58:59], -v[38:39], s[0:1]
	s_delay_alu instid0(VALU_DEP_2) | instskip(NEXT) | instid1(VALU_DEP_2)
	v_div_fmas_f64 v[28:29], v[28:29], v[42:43], v[60:61]
	v_mul_f64_e32 v[42:43], 0x3ff71547652b82fe, v[58:59]
	v_cmp_ngt_f64_e64 s0, 0xc090cc00, v[58:59]
	s_delay_alu instid0(VALU_DEP_2) | instskip(NEXT) | instid1(VALU_DEP_1)
	v_rndne_f64_e32 v[42:43], v[42:43]
	v_fmamk_f64 v[60:61], v[42:43], 0xbfe62e42fefa39ef, v[58:59]
	v_cvt_i32_f64_e32 v10, v[42:43]
	s_delay_alu instid0(VALU_DEP_2) | instskip(NEXT) | instid1(VALU_DEP_1)
	v_fmac_f64_e32 v[60:61], 0xbc7abc9e3b39803f, v[42:43]
	v_fmamk_f64 v[68:69], v[60:61], 0x3e5ade156a5dcb37, v[54:55]
	s_delay_alu instid0(VALU_DEP_1) | instskip(NEXT) | instid1(VALU_DEP_1)
	v_fmaak_f64 v[68:69], v[60:61], v[68:69], 0x3ec71dee623fde64
	v_fmaak_f64 v[68:69], v[60:61], v[68:69], 0x3efa01997c89e6b0
	s_delay_alu instid0(VALU_DEP_1) | instskip(NEXT) | instid1(VALU_DEP_1)
	v_fmaak_f64 v[68:69], v[60:61], v[68:69], 0x3f2a01a014761f6e
	v_fmaak_f64 v[68:69], v[60:61], v[68:69], 0x3f56c16c1852b7b0
	;; [unrolled: 3-line block ×4, first 2 shown]
	s_delay_alu instid0(VALU_DEP_1) | instskip(NEXT) | instid1(VALU_DEP_1)
	v_fma_f64 v[68:69], v[60:61], v[68:69], 1.0
	v_fma_f64 v[60:61], v[60:61], v[68:69], 1.0
	s_delay_alu instid0(VALU_DEP_1) | instskip(NEXT) | instid1(VALU_DEP_1)
	v_ldexp_f64 v[42:43], v[60:61], v10
	v_add_f64_e32 v[42:43], 1.0, v[42:43]
	v_div_fixup_f64 v[28:29], v[28:29], v[20:21], 0x40668000
	s_delay_alu instid0(VALU_DEP_2) | instskip(NEXT) | instid1(VALU_DEP_2)
	v_div_scale_f64 v[60:61], null, v[42:43], v[42:43], 0x40690000
	v_add_f64_e32 v[28:29], 0x40340000, v[28:29]
	s_delay_alu instid0(VALU_DEP_2) | instskip(SKIP_1) | instid1(TRANS32_DEP_1)
	v_rcp_f64_e32 v[68:69], v[60:61]
	v_nop
	v_fma_f64 v[78:79], -v[60:61], v[68:69], 1.0
	s_delay_alu instid0(VALU_DEP_1) | instskip(NEXT) | instid1(VALU_DEP_1)
	v_fmac_f64_e32 v[68:69], v[68:69], v[78:79]
	v_fma_f64 v[78:79], -v[60:61], v[68:69], 1.0
	s_delay_alu instid0(VALU_DEP_1) | instskip(SKIP_1) | instid1(VALU_DEP_1)
	v_fmac_f64_e32 v[68:69], v[68:69], v[78:79]
	v_div_scale_f64 v[78:79], vcc_lo, 0x40690000, v[42:43], 0x40690000
	v_mul_f64_e32 v[94:95], v[78:79], v[68:69]
	s_delay_alu instid0(VALU_DEP_1) | instskip(NEXT) | instid1(VALU_DEP_1)
	v_fma_f64 v[60:61], -v[60:61], v[94:95], v[78:79]
	v_div_fmas_f64 v[60:61], v[60:61], v[68:69], v[94:95]
	v_cmp_nlt_f64_e32 vcc_lo, 0x40900000, v[58:59]
	s_delay_alu instid0(VALU_DEP_2) | instskip(NEXT) | instid1(VALU_DEP_1)
	v_div_fixup_f64 v[42:43], v[60:61], v[42:43], 0x40690000
	v_cndmask_b32_e32 v10, 0, v43, vcc_lo
	s_and_b32 vcc_lo, s0, vcc_lo
	s_delay_alu instid0(VALU_DEP_2) | instskip(NEXT) | instid1(VALU_DEP_2)
	v_cndmask_b32_e32 v42, 0, v42, vcc_lo
	v_cndmask_b32_e64 v43, 0x40690000, v10, s0
	s_delay_alu instid0(VALU_DEP_1) | instskip(SKIP_1) | instid1(VALU_DEP_1)
	v_add_f64_e32 v[58:59], v[42:43], v[28:29]
	v_add_f64_e32 v[28:29], 0x403b0000, v[0:1]
	v_mul_f64_e64 v[28:29], v[28:29], -v[28:29]
	s_delay_alu instid0(VALU_DEP_1) | instskip(NEXT) | instid1(VALU_DEP_1)
	v_div_scale_f64 v[42:43], null, 0x406c2000, 0x406c2000, v[28:29]
	v_rcp_f64_e32 v[60:61], v[42:43]
	v_nop
	s_delay_alu instid0(TRANS32_DEP_1) | instskip(NEXT) | instid1(VALU_DEP_1)
	v_fma_f64 v[68:69], -v[42:43], v[60:61], 1.0
	v_fmac_f64_e32 v[60:61], v[60:61], v[68:69]
	s_delay_alu instid0(VALU_DEP_1) | instskip(NEXT) | instid1(VALU_DEP_1)
	v_fma_f64 v[68:69], -v[42:43], v[60:61], 1.0
	v_fmac_f64_e32 v[60:61], v[60:61], v[68:69]
	v_div_scale_f64 v[68:69], vcc_lo, v[28:29], 0x406c2000, v[28:29]
	s_delay_alu instid0(VALU_DEP_1) | instskip(NEXT) | instid1(VALU_DEP_1)
	v_mul_f64_e32 v[78:79], v[68:69], v[60:61]
	v_fma_f64 v[42:43], -v[42:43], v[78:79], v[68:69]
	s_delay_alu instid0(VALU_DEP_1) | instskip(SKIP_2) | instid1(VALU_DEP_1)
	v_div_fmas_f64 v[42:43], v[42:43], v[60:61], v[78:79]
	scratch_load_b64 v[78:79], off, off offset:144 ; 8-byte Folded Reload
	v_div_fixup_f64 v[42:43], v[42:43], 0x406c2000, v[28:29]
	v_mul_f64_e32 v[60:61], 0x3ff71547652b82fe, v[42:43]
	v_cmp_nlt_f64_e32 vcc_lo, 0x40900000, v[42:43]
	v_cmp_ngt_f64_e64 s0, 0xc090cc00, v[42:43]
	s_delay_alu instid0(VALU_DEP_3) | instskip(NEXT) | instid1(VALU_DEP_1)
	v_rndne_f64_e32 v[60:61], v[60:61]
	v_fmamk_f64 v[68:69], v[60:61], 0xbfe62e42fefa39ef, v[42:43]
	s_delay_alu instid0(VALU_DEP_1) | instskip(NEXT) | instid1(VALU_DEP_1)
	v_fmac_f64_e32 v[68:69], 0xbc7abc9e3b39803f, v[60:61]
	v_fmac_f64_e32 v[54:55], 0x3e5ade156a5dcb37, v[68:69]
	s_delay_alu instid0(VALU_DEP_1) | instskip(NEXT) | instid1(VALU_DEP_1)
	v_fmac_f64_e32 v[46:47], v[68:69], v[54:55]
	v_fmac_f64_e32 v[44:45], v[68:69], v[46:47]
	;; [unrolled: 3-line block ×3, first 2 shown]
	s_wait_loadcnt 0x0
	v_add_f64_e64 v[2:3], v[2:3], -v[78:79]
	s_delay_alu instid0(VALU_DEP_2) | instskip(NEXT) | instid1(VALU_DEP_1)
	v_fmac_f64_e32 v[12:13], v[68:69], v[14:15]
	v_fmac_f64_e32 v[8:9], v[68:69], v[12:13]
	s_delay_alu instid0(VALU_DEP_1) | instskip(NEXT) | instid1(VALU_DEP_1)
	v_fmac_f64_e32 v[4:5], v[68:69], v[8:9]
	v_fmac_f64_e32 v[6:7], v[68:69], v[4:5]
	s_delay_alu instid0(VALU_DEP_1) | instskip(SKIP_1) | instid1(VALU_DEP_2)
	v_fma_f64 v[4:5], v[68:69], v[6:7], 1.0
	v_cvt_i32_f64_e32 v6, v[60:61]
	v_fma_f64 v[4:5], v[68:69], v[4:5], 1.0
	s_delay_alu instid0(VALU_DEP_1) | instskip(NEXT) | instid1(VALU_DEP_1)
	v_ldexp_f64 v[4:5], v[4:5], v6
	v_mul_f64_e32 v[4:5], 0x40913a00, v[4:5]
	s_delay_alu instid0(VALU_DEP_1)
	v_cndmask_b32_e32 v5, 0x7ff00000, v5, vcc_lo
	s_and_b32 vcc_lo, s0, vcc_lo
	s_delay_alu instid0(VALU_DEP_1) | instid1(SALU_CYCLE_1)
	v_dual_cndmask_b32 v4, 0, v4, vcc_lo :: v_dual_cndmask_b32 v5, 0, v5, s0
	s_mov_b64 s[0:1], 0x3e45798ee2308c3a
	s_delay_alu instid0(VALU_DEP_1) | instskip(NEXT) | instid1(VALU_DEP_1)
	v_add_f64_e32 v[4:5], v[4:5], v[58:59]
	v_div_scale_f64 v[6:7], null, v[4:5], v[4:5], v[2:3]
	s_delay_alu instid0(VALU_DEP_1) | instskip(SKIP_1) | instid1(TRANS32_DEP_1)
	v_rcp_f64_e32 v[8:9], v[6:7]
	v_nop
	v_fma_f64 v[12:13], -v[6:7], v[8:9], 1.0
	s_delay_alu instid0(VALU_DEP_1) | instskip(NEXT) | instid1(VALU_DEP_1)
	v_fmac_f64_e32 v[8:9], v[8:9], v[12:13]
	v_fma_f64 v[12:13], -v[6:7], v[8:9], 1.0
	s_delay_alu instid0(VALU_DEP_1) | instskip(SKIP_1) | instid1(VALU_DEP_1)
	v_fmac_f64_e32 v[8:9], v[8:9], v[12:13]
	v_div_scale_f64 v[12:13], vcc_lo, v[2:3], v[4:5], v[2:3]
	v_mul_f64_e32 v[14:15], v[12:13], v[8:9]
	s_delay_alu instid0(VALU_DEP_1) | instskip(NEXT) | instid1(VALU_DEP_1)
	v_fma_f64 v[6:7], -v[6:7], v[14:15], v[12:13]
	v_div_fmas_f64 v[6:7], v[6:7], v[8:9], v[14:15]
	s_delay_alu instid0(VALU_DEP_1) | instskip(SKIP_1) | instid1(VALU_DEP_1)
	v_div_fixup_f64 v[2:3], v[6:7], v[4:5], v[2:3]
	v_div_scale_f64 v[6:7], null, v[4:5], v[4:5], -1.0
	v_rcp_f64_e32 v[8:9], v[6:7]
	v_nop
	s_delay_alu instid0(TRANS32_DEP_1) | instskip(NEXT) | instid1(VALU_DEP_1)
	v_fma_f64 v[12:13], -v[6:7], v[8:9], 1.0
	v_fmac_f64_e32 v[8:9], v[8:9], v[12:13]
	s_delay_alu instid0(VALU_DEP_1) | instskip(NEXT) | instid1(VALU_DEP_1)
	v_fma_f64 v[12:13], -v[6:7], v[8:9], 1.0
	v_fmac_f64_e32 v[8:9], v[8:9], v[12:13]
	v_div_scale_f64 v[12:13], vcc_lo, -1.0, v[4:5], -1.0
	s_delay_alu instid0(VALU_DEP_1) | instskip(NEXT) | instid1(VALU_DEP_1)
	v_mul_f64_e32 v[14:15], v[12:13], v[8:9]
	v_fma_f64 v[6:7], -v[6:7], v[14:15], v[12:13]
	s_delay_alu instid0(VALU_DEP_1) | instskip(NEXT) | instid1(VALU_DEP_1)
	v_div_fmas_f64 v[6:7], v[6:7], v[8:9], v[14:15]
                                        ; implicit-def: $vgpr8_vgpr9
	v_div_fixup_f64 v[4:5], v[6:7], v[4:5], -1.0
	s_delay_alu instid0(VALU_DEP_1) | instskip(SKIP_2) | instid1(SALU_CYCLE_1)
	v_cmp_ngt_f64_e64 s0, |v[4:5]|, s[0:1]
	s_wait_xcnt 0x0
	s_and_saveexec_b32 s1, s0
	s_xor_b32 s0, exec_lo, s1
; %bb.38:
	v_mul_f64_e32 v[8:9], s[12:13], v[2:3]
                                        ; implicit-def: $vgpr4_vgpr5
                                        ; implicit-def: $vgpr2_vgpr3
; %bb.39:
	s_or_saveexec_b32 s1, s0
	v_ashrrev_i32_e32 v27, 31, v26
	v_lshl_add_u64 v[6:7], v[64:65], 3, s[8:9]
	s_xor_b32 exec_lo, exec_lo, s1
	s_cbranch_execz .LBB0_41
; %bb.40:
	v_mul_f64_e32 v[8:9], s[12:13], v[4:5]
	s_mov_b64 s[2:3], 0x3e5ade156a5dcb37
	s_delay_alu instid0(VALU_DEP_1) | instskip(SKIP_2) | instid1(VALU_DEP_3)
	v_mul_f64_e32 v[12:13], 0x3ff71547652b82fe, v[8:9]
	v_cmp_nlt_f64_e32 vcc_lo, 0x40900000, v[8:9]
	v_cmp_ngt_f64_e64 s0, 0xc090cc00, v[8:9]
	v_rndne_f64_e32 v[12:13], v[12:13]
	s_delay_alu instid0(VALU_DEP_1) | instskip(SKIP_1) | instid1(VALU_DEP_2)
	v_fmamk_f64 v[14:15], v[12:13], 0xbfe62e42fefa39ef, v[8:9]
	v_cvt_i32_f64_e32 v10, v[12:13]
	v_fmamk_f64 v[14:15], v[12:13], 0xbc7abc9e3b39803f, v[14:15]
	s_delay_alu instid0(VALU_DEP_1) | instskip(NEXT) | instid1(VALU_DEP_1)
	v_fmaak_f64 v[32:33], s[2:3], v[14:15], 0x3e928af3fca7ab0c
	v_fmaak_f64 v[32:33], v[14:15], v[32:33], 0x3ec71dee623fde64
	s_delay_alu instid0(VALU_DEP_1) | instskip(NEXT) | instid1(VALU_DEP_1)
	v_fmaak_f64 v[32:33], v[14:15], v[32:33], 0x3efa01997c89e6b0
	v_fmaak_f64 v[32:33], v[14:15], v[32:33], 0x3f2a01a014761f6e
	;; [unrolled: 3-line block ×4, first 2 shown]
	s_delay_alu instid0(VALU_DEP_1) | instskip(NEXT) | instid1(VALU_DEP_1)
	v_fmaak_f64 v[32:33], v[14:15], v[32:33], 0x3fe000000000000b
	v_fma_f64 v[32:33], v[14:15], v[32:33], 1.0
	s_delay_alu instid0(VALU_DEP_1) | instskip(NEXT) | instid1(VALU_DEP_1)
	v_fma_f64 v[12:13], v[14:15], v[32:33], 1.0
	v_ldexp_f64 v[12:13], v[12:13], v10
	s_delay_alu instid0(VALU_DEP_1) | instskip(NEXT) | instid1(VALU_DEP_1)
	v_add_f64_e32 v[12:13], -1.0, v[12:13]
	v_cndmask_b32_e32 v10, 0x7ff00000, v13, vcc_lo
	s_and_b32 vcc_lo, s0, vcc_lo
	s_delay_alu instid0(VALU_DEP_2) | instskip(NEXT) | instid1(VALU_DEP_2)
	v_cndmask_b32_e32 v8, 0, v12, vcc_lo
	v_cndmask_b32_e64 v9, 0xbff00000, v10, s0
	s_delay_alu instid0(VALU_DEP_1) | instskip(NEXT) | instid1(VALU_DEP_1)
	v_mul_f64_e32 v[2:3], v[2:3], v[8:9]
	v_div_scale_f64 v[8:9], null, v[4:5], v[4:5], v[2:3]
	s_delay_alu instid0(VALU_DEP_1) | instskip(SKIP_1) | instid1(TRANS32_DEP_1)
	v_rcp_f64_e32 v[12:13], v[8:9]
	v_nop
	v_fma_f64 v[14:15], -v[8:9], v[12:13], 1.0
	s_delay_alu instid0(VALU_DEP_1) | instskip(NEXT) | instid1(VALU_DEP_1)
	v_fmac_f64_e32 v[12:13], v[12:13], v[14:15]
	v_fma_f64 v[14:15], -v[8:9], v[12:13], 1.0
	s_delay_alu instid0(VALU_DEP_1) | instskip(SKIP_1) | instid1(VALU_DEP_1)
	v_fmac_f64_e32 v[12:13], v[12:13], v[14:15]
	v_div_scale_f64 v[14:15], vcc_lo, v[2:3], v[4:5], v[2:3]
	v_mul_f64_e32 v[32:33], v[14:15], v[12:13]
	s_delay_alu instid0(VALU_DEP_1) | instskip(NEXT) | instid1(VALU_DEP_1)
	v_fma_f64 v[8:9], -v[8:9], v[32:33], v[14:15]
	v_div_fmas_f64 v[8:9], v[8:9], v[12:13], v[32:33]
	s_delay_alu instid0(VALU_DEP_1)
	v_div_fixup_f64 v[8:9], v[8:9], v[4:5], v[2:3]
.LBB0_41:
	s_or_b32 exec_lo, exec_lo, s1
	s_delay_alu instid0(VALU_DEP_1)
	v_add_f64_e32 v[2:3], v[78:79], v[8:9]
	v_mov_b64_e32 v[54:55], 0x3e928af3fca7ab0c
	s_mov_b64 s[0:1], 0x3fe570a3d70a3d71
	v_add_f64_e64 v[38:39], 0x40040000, -v[38:39]
	v_mov_b64_e32 v[46:47], 0x3ec71dee623fde64
	v_mov_b64_e32 v[44:45], 0x3efa01997c89e6b0
	;; [unrolled: 1-line block ×6, first 2 shown]
	global_store_b64 v[6:7], v[2:3], off
	s_wait_xcnt 0x0
	v_add_f64_e32 v[2:3], 0x40140000, v[72:73]
	s_delay_alu instid0(VALU_DEP_1) | instskip(NEXT) | instid1(VALU_DEP_1)
	v_mul_f64_e32 v[4:5], 0x3ff71547652b82fe, v[2:3]
	v_rndne_f64_e32 v[42:43], v[4:5]
	s_delay_alu instid0(VALU_DEP_1) | instskip(SKIP_1) | instid1(VALU_DEP_2)
	v_fmamk_f64 v[58:59], v[42:43], 0xbfe62e42fefa39ef, v[2:3]
	v_cvt_i32_f64_e32 v10, v[42:43]
	v_fmac_f64_e32 v[58:59], 0xbc7abc9e3b39803f, v[42:43]
	s_delay_alu instid0(VALU_DEP_1) | instskip(NEXT) | instid1(VALU_DEP_1)
	v_fmamk_f64 v[4:5], v[58:59], 0x3e5ade156a5dcb37, v[54:55]
	v_fmaak_f64 v[4:5], v[58:59], v[4:5], 0x3ec71dee623fde64
	s_delay_alu instid0(VALU_DEP_1) | instskip(NEXT) | instid1(VALU_DEP_1)
	v_fmaak_f64 v[4:5], v[58:59], v[4:5], 0x3efa01997c89e6b0
	v_fmaak_f64 v[4:5], v[58:59], v[4:5], 0x3f2a01a014761f6e
	s_delay_alu instid0(VALU_DEP_1) | instskip(NEXT) | instid1(VALU_DEP_1)
	v_fmaak_f64 v[4:5], v[58:59], v[4:5], 0x3f56c16c1852b7b0
	v_fmaak_f64 v[4:5], v[58:59], v[4:5], 0x3f81111111122322
	s_delay_alu instid0(VALU_DEP_1) | instskip(SKIP_1) | instid1(VALU_DEP_2)
	v_fmaak_f64 v[6:7], v[58:59], v[4:5], 0x3fa55555555502a1
	v_mov_b64_e32 v[4:5], 0x3fc5555555555511
	v_fmaak_f64 v[60:61], v[58:59], v[6:7], 0x3fc5555555555511
	v_mov_b64_e32 v[6:7], 0x3fe000000000000b
	s_delay_alu instid0(VALU_DEP_2) | instskip(NEXT) | instid1(VALU_DEP_1)
	v_fmaak_f64 v[60:61], v[58:59], v[60:61], 0x3fe000000000000b
	v_fma_f64 v[60:61], v[58:59], v[60:61], 1.0
	s_delay_alu instid0(VALU_DEP_1) | instskip(NEXT) | instid1(VALU_DEP_1)
	v_fma_f64 v[58:59], v[58:59], v[60:61], 1.0
	v_ldexp_f64 v[42:43], v[58:59], v10
	s_delay_alu instid0(VALU_DEP_1) | instskip(NEXT) | instid1(VALU_DEP_1)
	v_add_f64_e32 v[42:43], 1.0, v[42:43]
	v_div_scale_f64 v[58:59], null, v[42:43], v[42:43], s[0:1]
	s_delay_alu instid0(VALU_DEP_1) | instskip(SKIP_1) | instid1(TRANS32_DEP_1)
	v_rcp_f64_e32 v[60:61], v[58:59]
	v_nop
	v_fma_f64 v[64:65], -v[58:59], v[60:61], 1.0
	s_delay_alu instid0(VALU_DEP_1) | instskip(NEXT) | instid1(VALU_DEP_1)
	v_fmac_f64_e32 v[60:61], v[60:61], v[64:65]
	v_fma_f64 v[64:65], -v[58:59], v[60:61], 1.0
	s_delay_alu instid0(VALU_DEP_1) | instskip(SKIP_1) | instid1(VALU_DEP_1)
	v_fmac_f64_e32 v[60:61], v[60:61], v[64:65]
	v_div_scale_f64 v[64:65], vcc_lo, s[0:1], v[42:43], s[0:1]
	v_mul_f64_e32 v[68:69], v[64:65], v[60:61]
	s_delay_alu instid0(VALU_DEP_1) | instskip(NEXT) | instid1(VALU_DEP_1)
	v_fma_f64 v[58:59], -v[58:59], v[68:69], v[64:65]
	v_div_fmas_f64 v[58:59], v[58:59], v[60:61], v[68:69]
	v_cmp_nlt_f64_e32 vcc_lo, 0x40900000, v[2:3]
	s_delay_alu instid0(VALU_DEP_2) | instskip(SKIP_1) | instid1(VALU_DEP_2)
	v_div_fixup_f64 v[42:43], v[58:59], v[42:43], s[0:1]
	v_cmp_ngt_f64_e64 s0, 0xc090cc00, v[38:39]
	v_add_f64_e32 v[42:43], 0x3fd51eb851eb851f, v[42:43]
	s_delay_alu instid0(VALU_DEP_1) | instskip(NEXT) | instid1(VALU_DEP_2)
	v_cndmask_b32_e32 v10, 0x51eb851f, v42, vcc_lo
	v_cndmask_b32_e32 v11, 0x3fd51eb8, v43, vcc_lo
	v_mul_f64_e32 v[42:43], 0x3ff71547652b82fe, v[38:39]
	v_cmp_ngt_f64_e32 vcc_lo, 0xc090cc00, v[2:3]
	s_delay_alu instid0(VALU_DEP_2) | instskip(SKIP_2) | instid1(VALU_DEP_3)
	v_rndne_f64_e32 v[42:43], v[42:43]
	v_cndmask_b32_e32 v2, 0, v10, vcc_lo
	v_cndmask_b32_e32 v3, 0x3ff00000, v11, vcc_lo
	v_fmamk_f64 v[58:59], v[42:43], 0xbfe62e42fefa39ef, v[38:39]
	v_cvt_i32_f64_e32 v10, v[42:43]
	s_delay_alu instid0(VALU_DEP_2) | instskip(NEXT) | instid1(VALU_DEP_1)
	v_fmac_f64_e32 v[58:59], 0xbc7abc9e3b39803f, v[42:43]
	v_fmamk_f64 v[60:61], v[58:59], 0x3e5ade156a5dcb37, v[54:55]
	s_delay_alu instid0(VALU_DEP_1) | instskip(NEXT) | instid1(VALU_DEP_1)
	v_fmaak_f64 v[60:61], v[58:59], v[60:61], 0x3ec71dee623fde64
	v_fmaak_f64 v[60:61], v[58:59], v[60:61], 0x3efa01997c89e6b0
	s_delay_alu instid0(VALU_DEP_1) | instskip(NEXT) | instid1(VALU_DEP_1)
	v_fmaak_f64 v[60:61], v[58:59], v[60:61], 0x3f2a01a014761f6e
	v_fmaak_f64 v[60:61], v[58:59], v[60:61], 0x3f56c16c1852b7b0
	;; [unrolled: 3-line block ×4, first 2 shown]
	s_delay_alu instid0(VALU_DEP_1) | instskip(NEXT) | instid1(VALU_DEP_1)
	v_fma_f64 v[60:61], v[58:59], v[60:61], 1.0
	v_fma_f64 v[58:59], v[58:59], v[60:61], 1.0
	s_delay_alu instid0(VALU_DEP_1) | instskip(NEXT) | instid1(VALU_DEP_1)
	v_ldexp_f64 v[42:43], v[58:59], v10
	v_add_f64_e32 v[42:43], 1.0, v[42:43]
	s_delay_alu instid0(VALU_DEP_1) | instskip(NEXT) | instid1(VALU_DEP_1)
	v_div_scale_f64 v[58:59], null, v[42:43], v[42:43], 0x403f0000
	v_rcp_f64_e32 v[60:61], v[58:59]
	v_nop
	s_delay_alu instid0(TRANS32_DEP_1) | instskip(NEXT) | instid1(VALU_DEP_1)
	v_fma_f64 v[64:65], -v[58:59], v[60:61], 1.0
	v_fmac_f64_e32 v[60:61], v[60:61], v[64:65]
	s_delay_alu instid0(VALU_DEP_1) | instskip(NEXT) | instid1(VALU_DEP_1)
	v_fma_f64 v[64:65], -v[58:59], v[60:61], 1.0
	v_fmac_f64_e32 v[60:61], v[60:61], v[64:65]
	v_div_scale_f64 v[64:65], vcc_lo, 0x403f0000, v[42:43], 0x403f0000
	s_delay_alu instid0(VALU_DEP_1) | instskip(NEXT) | instid1(VALU_DEP_1)
	v_mul_f64_e32 v[68:69], v[64:65], v[60:61]
	v_fma_f64 v[58:59], -v[58:59], v[68:69], v[64:65]
	s_delay_alu instid0(VALU_DEP_1) | instskip(SKIP_1) | instid1(VALU_DEP_2)
	v_div_fmas_f64 v[58:59], v[58:59], v[60:61], v[68:69]
	v_cmp_nlt_f64_e32 vcc_lo, 0x40900000, v[38:39]
	v_div_fixup_f64 v[42:43], v[58:59], v[42:43], 0x403f0000
	s_delay_alu instid0(VALU_DEP_1) | instskip(SKIP_1) | instid1(VALU_DEP_2)
	v_cndmask_b32_e32 v10, 0, v43, vcc_lo
	s_and_b32 vcc_lo, s0, vcc_lo
	v_cndmask_b32_e32 v38, 0, v42, vcc_lo
	v_div_scale_f64 v[42:43], null, v[20:21], v[20:21], 0x40540000
	s_delay_alu instid0(VALU_DEP_3) | instskip(NEXT) | instid1(VALU_DEP_2)
	v_cndmask_b32_e64 v39, 0x403f0000, v10, s0
	v_rcp_f64_e32 v[58:59], v[42:43]
	v_nop
	s_delay_alu instid0(TRANS32_DEP_1) | instskip(NEXT) | instid1(VALU_DEP_1)
	v_fma_f64 v[60:61], -v[42:43], v[58:59], 1.0
	v_fmac_f64_e32 v[58:59], v[58:59], v[60:61]
	s_delay_alu instid0(VALU_DEP_1) | instskip(NEXT) | instid1(VALU_DEP_1)
	v_fma_f64 v[60:61], -v[42:43], v[58:59], 1.0
	v_fmac_f64_e32 v[58:59], v[58:59], v[60:61]
	v_div_scale_f64 v[60:61], vcc_lo, 0x40540000, v[20:21], 0x40540000
	s_delay_alu instid0(VALU_DEP_1) | instskip(NEXT) | instid1(VALU_DEP_1)
	v_mul_f64_e32 v[64:65], v[60:61], v[58:59]
	v_fma_f64 v[42:43], -v[42:43], v[64:65], v[60:61]
	s_delay_alu instid0(VALU_DEP_1) | instskip(NEXT) | instid1(VALU_DEP_1)
	v_div_fmas_f64 v[42:43], v[42:43], v[58:59], v[64:65]
	v_div_fixup_f64 v[20:21], v[42:43], v[20:21], 0x40540000
	s_delay_alu instid0(VALU_DEP_1) | instskip(SKIP_1) | instid1(VALU_DEP_1)
	v_add_f64_e32 v[20:21], v[38:39], v[20:21]
	v_div_scale_f64 v[38:39], null, 0x406e0000, 0x406e0000, v[28:29]
	v_rcp_f64_e32 v[42:43], v[38:39]
	v_nop
	s_delay_alu instid0(TRANS32_DEP_1) | instskip(NEXT) | instid1(VALU_DEP_1)
	v_fma_f64 v[58:59], -v[38:39], v[42:43], 1.0
	v_fmac_f64_e32 v[42:43], v[42:43], v[58:59]
	s_delay_alu instid0(VALU_DEP_1) | instskip(NEXT) | instid1(VALU_DEP_1)
	v_fma_f64 v[58:59], -v[38:39], v[42:43], 1.0
	v_fmac_f64_e32 v[42:43], v[42:43], v[58:59]
	v_div_scale_f64 v[58:59], vcc_lo, v[28:29], 0x406e0000, v[28:29]
	s_delay_alu instid0(VALU_DEP_1) | instskip(NEXT) | instid1(VALU_DEP_1)
	v_mul_f64_e32 v[60:61], v[58:59], v[42:43]
	v_fma_f64 v[38:39], -v[38:39], v[60:61], v[58:59]
	s_delay_alu instid0(VALU_DEP_1) | instskip(NEXT) | instid1(VALU_DEP_1)
	v_div_fmas_f64 v[38:39], v[38:39], v[42:43], v[60:61]
	v_div_fixup_f64 v[28:29], v[38:39], 0x406e0000, v[28:29]
	s_delay_alu instid0(VALU_DEP_1) | instskip(SKIP_2) | instid1(VALU_DEP_3)
	v_mul_f64_e32 v[38:39], 0x3ff71547652b82fe, v[28:29]
	v_cmp_nlt_f64_e32 vcc_lo, 0x40900000, v[28:29]
	v_cmp_ngt_f64_e64 s0, 0xc090cc00, v[28:29]
	v_rndne_f64_e32 v[38:39], v[38:39]
	s_delay_alu instid0(VALU_DEP_1) | instskip(NEXT) | instid1(VALU_DEP_1)
	v_fmamk_f64 v[42:43], v[38:39], 0xbfe62e42fefa39ef, v[28:29]
	v_fmac_f64_e32 v[42:43], 0xbc7abc9e3b39803f, v[38:39]
	s_delay_alu instid0(VALU_DEP_1) | instskip(NEXT) | instid1(VALU_DEP_1)
	v_fmac_f64_e32 v[54:55], 0x3e5ade156a5dcb37, v[42:43]
	v_fmac_f64_e32 v[46:47], v[42:43], v[54:55]
	s_delay_alu instid0(VALU_DEP_1) | instskip(NEXT) | instid1(VALU_DEP_1)
	v_fmac_f64_e32 v[44:45], v[42:43], v[46:47]
	;; [unrolled: 3-line block ×5, first 2 shown]
	v_fma_f64 v[4:5], v[42:43], v[6:7], 1.0
	v_cvt_i32_f64_e32 v6, v[38:39]
	s_delay_alu instid0(VALU_DEP_2) | instskip(NEXT) | instid1(VALU_DEP_1)
	v_fma_f64 v[4:5], v[42:43], v[4:5], 1.0
	v_ldexp_f64 v[4:5], v[4:5], v6
	scratch_load_b64 v[6:7], off, off offset:32 ; 8-byte Folded Reload
	v_mul_f64_e32 v[4:5], 0x40819000, v[4:5]
	s_delay_alu instid0(VALU_DEP_1)
	v_cndmask_b32_e32 v5, 0x7ff00000, v5, vcc_lo
	s_and_b32 vcc_lo, s0, vcc_lo
	s_delay_alu instid0(VALU_DEP_1) | instid1(SALU_CYCLE_1)
	v_dual_cndmask_b32 v4, 0, v4, vcc_lo :: v_dual_cndmask_b32 v5, 0, v5, s0
	s_mov_b64 s[0:1], 0x3e45798ee2308c3a
	s_delay_alu instid0(VALU_DEP_1) | instskip(SKIP_2) | instid1(VALU_DEP_1)
	v_add_f64_e32 v[4:5], v[4:5], v[20:21]
	s_wait_loadcnt 0x0
	v_add_f64_e64 v[2:3], v[2:3], -v[6:7]
	v_div_scale_f64 v[6:7], null, v[4:5], v[4:5], v[2:3]
	s_delay_alu instid0(VALU_DEP_1) | instskip(SKIP_1) | instid1(TRANS32_DEP_1)
	v_rcp_f64_e32 v[8:9], v[6:7]
	v_nop
	v_fma_f64 v[12:13], -v[6:7], v[8:9], 1.0
	s_delay_alu instid0(VALU_DEP_1) | instskip(NEXT) | instid1(VALU_DEP_1)
	v_fmac_f64_e32 v[8:9], v[8:9], v[12:13]
	v_fma_f64 v[12:13], -v[6:7], v[8:9], 1.0
	s_delay_alu instid0(VALU_DEP_1) | instskip(SKIP_1) | instid1(VALU_DEP_1)
	v_fmac_f64_e32 v[8:9], v[8:9], v[12:13]
	v_div_scale_f64 v[12:13], vcc_lo, v[2:3], v[4:5], v[2:3]
	v_mul_f64_e32 v[14:15], v[12:13], v[8:9]
	s_delay_alu instid0(VALU_DEP_1) | instskip(NEXT) | instid1(VALU_DEP_1)
	v_fma_f64 v[6:7], -v[6:7], v[14:15], v[12:13]
	v_div_fmas_f64 v[6:7], v[6:7], v[8:9], v[14:15]
	s_delay_alu instid0(VALU_DEP_1) | instskip(SKIP_1) | instid1(VALU_DEP_1)
	v_div_fixup_f64 v[2:3], v[6:7], v[4:5], v[2:3]
	v_div_scale_f64 v[6:7], null, v[4:5], v[4:5], -1.0
	v_rcp_f64_e32 v[8:9], v[6:7]
	v_nop
	s_delay_alu instid0(TRANS32_DEP_1) | instskip(NEXT) | instid1(VALU_DEP_1)
	v_fma_f64 v[12:13], -v[6:7], v[8:9], 1.0
	v_fmac_f64_e32 v[8:9], v[8:9], v[12:13]
	s_delay_alu instid0(VALU_DEP_1) | instskip(NEXT) | instid1(VALU_DEP_1)
	v_fma_f64 v[12:13], -v[6:7], v[8:9], 1.0
	v_fmac_f64_e32 v[8:9], v[8:9], v[12:13]
	v_div_scale_f64 v[12:13], vcc_lo, -1.0, v[4:5], -1.0
	s_delay_alu instid0(VALU_DEP_1) | instskip(NEXT) | instid1(VALU_DEP_1)
	v_mul_f64_e32 v[14:15], v[12:13], v[8:9]
	v_fma_f64 v[6:7], -v[6:7], v[14:15], v[12:13]
	s_delay_alu instid0(VALU_DEP_1) | instskip(NEXT) | instid1(VALU_DEP_1)
	v_div_fmas_f64 v[6:7], v[6:7], v[8:9], v[14:15]
                                        ; implicit-def: $vgpr8_vgpr9
	v_div_fixup_f64 v[4:5], v[6:7], v[4:5], -1.0
	s_delay_alu instid0(VALU_DEP_1) | instskip(SKIP_2) | instid1(SALU_CYCLE_1)
	v_cmp_ngt_f64_e64 s0, |v[4:5]|, s[0:1]
	s_wait_xcnt 0x0
	s_and_saveexec_b32 s1, s0
	s_xor_b32 s0, exec_lo, s1
; %bb.42:
	v_mul_f64_e32 v[8:9], s[12:13], v[2:3]
                                        ; implicit-def: $vgpr4_vgpr5
                                        ; implicit-def: $vgpr2_vgpr3
; %bb.43:
	s_or_saveexec_b32 s1, s0
	v_ashrrev_i32_e32 v17, 31, v16
	v_lshl_add_u64 v[6:7], v[26:27], 3, s[8:9]
	s_xor_b32 exec_lo, exec_lo, s1
	s_cbranch_execz .LBB0_45
; %bb.44:
	v_mul_f64_e32 v[8:9], s[12:13], v[4:5]
	s_mov_b64 s[2:3], 0x3e5ade156a5dcb37
	s_delay_alu instid0(VALU_DEP_1) | instskip(SKIP_2) | instid1(VALU_DEP_3)
	v_mul_f64_e32 v[12:13], 0x3ff71547652b82fe, v[8:9]
	v_cmp_nlt_f64_e32 vcc_lo, 0x40900000, v[8:9]
	v_cmp_ngt_f64_e64 s0, 0xc090cc00, v[8:9]
	v_rndne_f64_e32 v[12:13], v[12:13]
	s_delay_alu instid0(VALU_DEP_1) | instskip(SKIP_1) | instid1(VALU_DEP_2)
	v_fmamk_f64 v[14:15], v[12:13], 0xbfe62e42fefa39ef, v[8:9]
	v_cvt_i32_f64_e32 v10, v[12:13]
	v_fmamk_f64 v[14:15], v[12:13], 0xbc7abc9e3b39803f, v[14:15]
	s_delay_alu instid0(VALU_DEP_1) | instskip(NEXT) | instid1(VALU_DEP_1)
	v_fmaak_f64 v[20:21], s[2:3], v[14:15], 0x3e928af3fca7ab0c
	v_fmaak_f64 v[20:21], v[14:15], v[20:21], 0x3ec71dee623fde64
	s_delay_alu instid0(VALU_DEP_1) | instskip(NEXT) | instid1(VALU_DEP_1)
	v_fmaak_f64 v[20:21], v[14:15], v[20:21], 0x3efa01997c89e6b0
	v_fmaak_f64 v[20:21], v[14:15], v[20:21], 0x3f2a01a014761f6e
	;; [unrolled: 3-line block ×4, first 2 shown]
	s_delay_alu instid0(VALU_DEP_1) | instskip(NEXT) | instid1(VALU_DEP_1)
	v_fmaak_f64 v[20:21], v[14:15], v[20:21], 0x3fe000000000000b
	v_fma_f64 v[20:21], v[14:15], v[20:21], 1.0
	s_delay_alu instid0(VALU_DEP_1) | instskip(NEXT) | instid1(VALU_DEP_1)
	v_fma_f64 v[12:13], v[14:15], v[20:21], 1.0
	v_ldexp_f64 v[12:13], v[12:13], v10
	s_delay_alu instid0(VALU_DEP_1) | instskip(NEXT) | instid1(VALU_DEP_1)
	v_add_f64_e32 v[12:13], -1.0, v[12:13]
	v_cndmask_b32_e32 v10, 0x7ff00000, v13, vcc_lo
	s_and_b32 vcc_lo, s0, vcc_lo
	s_delay_alu instid0(VALU_DEP_2) | instskip(NEXT) | instid1(VALU_DEP_2)
	v_cndmask_b32_e32 v8, 0, v12, vcc_lo
	v_cndmask_b32_e64 v9, 0xbff00000, v10, s0
	s_delay_alu instid0(VALU_DEP_1) | instskip(NEXT) | instid1(VALU_DEP_1)
	v_mul_f64_e32 v[2:3], v[2:3], v[8:9]
	v_div_scale_f64 v[8:9], null, v[4:5], v[4:5], v[2:3]
	s_delay_alu instid0(VALU_DEP_1) | instskip(SKIP_1) | instid1(TRANS32_DEP_1)
	v_rcp_f64_e32 v[12:13], v[8:9]
	v_nop
	v_fma_f64 v[14:15], -v[8:9], v[12:13], 1.0
	s_delay_alu instid0(VALU_DEP_1) | instskip(NEXT) | instid1(VALU_DEP_1)
	v_fmac_f64_e32 v[12:13], v[12:13], v[14:15]
	v_fma_f64 v[14:15], -v[8:9], v[12:13], 1.0
	s_delay_alu instid0(VALU_DEP_1) | instskip(SKIP_1) | instid1(VALU_DEP_1)
	v_fmac_f64_e32 v[12:13], v[12:13], v[14:15]
	v_div_scale_f64 v[14:15], vcc_lo, v[2:3], v[4:5], v[2:3]
	v_mul_f64_e32 v[20:21], v[14:15], v[12:13]
	s_delay_alu instid0(VALU_DEP_1) | instskip(NEXT) | instid1(VALU_DEP_1)
	v_fma_f64 v[8:9], -v[8:9], v[20:21], v[14:15]
	v_div_fmas_f64 v[8:9], v[8:9], v[12:13], v[20:21]
	s_delay_alu instid0(VALU_DEP_1)
	v_div_fixup_f64 v[8:9], v[8:9], v[4:5], v[2:3]
.LBB0_45:
	s_or_b32 exec_lo, exec_lo, s1
	scratch_load_b64 v[2:3], off, off offset:32 ; 8-byte Folded Reload
	v_mul_f64_e32 v[94:95], v[56:57], v[56:57]
	s_mov_b64 s[0:1], 0x3fe3333333333333
	s_wait_loadcnt 0x0
	v_add_f64_e32 v[2:3], v[2:3], v[8:9]
	global_store_b64 v[6:7], v[2:3], off
	s_wait_xcnt 0x0
	v_mov_b64_e32 v[2:3], 1.0
	s_delay_alu instid0(VALU_DEP_1) | instskip(NEXT) | instid1(VALU_DEP_1)
	v_fmamk_f64 v[2:3], v[94:95], 0x40790000, v[2:3]
	v_div_scale_f64 v[4:5], null, v[2:3], v[2:3], s[0:1]
	s_delay_alu instid0(VALU_DEP_1) | instskip(SKIP_1) | instid1(TRANS32_DEP_1)
	v_rcp_f64_e32 v[6:7], v[4:5]
	v_nop
	v_fma_f64 v[8:9], -v[4:5], v[6:7], 1.0
	s_delay_alu instid0(VALU_DEP_1) | instskip(NEXT) | instid1(VALU_DEP_1)
	v_fmac_f64_e32 v[6:7], v[6:7], v[8:9]
	v_fma_f64 v[8:9], -v[4:5], v[6:7], 1.0
	s_delay_alu instid0(VALU_DEP_1) | instskip(SKIP_1) | instid1(VALU_DEP_1)
	v_fmac_f64_e32 v[6:7], v[6:7], v[8:9]
	v_div_scale_f64 v[8:9], vcc_lo, s[0:1], v[2:3], s[0:1]
	v_mul_f64_e32 v[12:13], v[8:9], v[6:7]
	s_delay_alu instid0(VALU_DEP_1) | instskip(NEXT) | instid1(VALU_DEP_1)
	v_fma_f64 v[4:5], -v[4:5], v[12:13], v[8:9]
	v_div_fmas_f64 v[4:5], v[4:5], v[6:7], v[12:13]
	v_div_scale_f64 v[6:7], null, v[2:3], v[2:3], 0x40540000
	s_delay_alu instid0(VALU_DEP_2) | instskip(NEXT) | instid1(VALU_DEP_2)
	v_div_fixup_f64 v[4:5], v[4:5], v[2:3], s[0:1]
	v_rcp_f64_e32 v[8:9], v[6:7]
	s_mov_b64 s[0:1], 0x3e45798ee2308c3a
	s_delay_alu instid0(VALU_DEP_1) | instskip(NEXT) | instid1(TRANS32_DEP_1)
	v_add_f64_e32 v[4:5], 0x3fd999999999999a, v[4:5]
	v_fma_f64 v[12:13], -v[6:7], v[8:9], 1.0
	s_delay_alu instid0(VALU_DEP_1) | instskip(NEXT) | instid1(VALU_DEP_1)
	v_fmac_f64_e32 v[8:9], v[8:9], v[12:13]
	v_fma_f64 v[12:13], -v[6:7], v[8:9], 1.0
	s_delay_alu instid0(VALU_DEP_1) | instskip(SKIP_1) | instid1(VALU_DEP_1)
	v_fmac_f64_e32 v[8:9], v[8:9], v[12:13]
	v_div_scale_f64 v[12:13], vcc_lo, 0x40540000, v[2:3], 0x40540000
	v_mul_f64_e32 v[14:15], v[12:13], v[8:9]
	s_delay_alu instid0(VALU_DEP_1) | instskip(NEXT) | instid1(VALU_DEP_1)
	v_fma_f64 v[6:7], -v[6:7], v[14:15], v[12:13]
	v_div_fmas_f64 v[6:7], v[6:7], v[8:9], v[14:15]
	s_delay_alu instid0(VALU_DEP_1) | instskip(NEXT) | instid1(VALU_DEP_1)
	v_div_fixup_f64 v[2:3], v[6:7], v[2:3], 0x40540000
	v_add_f64_e32 v[6:7], 2.0, v[2:3]
	scratch_load_b64 v[2:3], off, off offset:40 ; 8-byte Folded Reload
	s_wait_loadcnt 0x0
	v_add_f64_e64 v[2:3], v[4:5], -v[2:3]
	s_delay_alu instid0(VALU_DEP_1) | instskip(NEXT) | instid1(VALU_DEP_1)
	v_div_scale_f64 v[4:5], null, v[6:7], v[6:7], v[2:3]
	v_rcp_f64_e32 v[8:9], v[4:5]
	v_nop
	s_delay_alu instid0(TRANS32_DEP_1) | instskip(NEXT) | instid1(VALU_DEP_1)
	v_fma_f64 v[12:13], -v[4:5], v[8:9], 1.0
	v_fmac_f64_e32 v[8:9], v[8:9], v[12:13]
	s_delay_alu instid0(VALU_DEP_1) | instskip(NEXT) | instid1(VALU_DEP_1)
	v_fma_f64 v[12:13], -v[4:5], v[8:9], 1.0
	v_fmac_f64_e32 v[8:9], v[8:9], v[12:13]
	v_div_scale_f64 v[12:13], vcc_lo, v[2:3], v[6:7], v[2:3]
	s_delay_alu instid0(VALU_DEP_1) | instskip(NEXT) | instid1(VALU_DEP_1)
	v_mul_f64_e32 v[14:15], v[12:13], v[8:9]
	v_fma_f64 v[4:5], -v[4:5], v[14:15], v[12:13]
	s_delay_alu instid0(VALU_DEP_1) | instskip(NEXT) | instid1(VALU_DEP_1)
	v_div_fmas_f64 v[4:5], v[4:5], v[8:9], v[14:15]
	v_div_fixup_f64 v[2:3], v[4:5], v[6:7], v[2:3]
	v_div_scale_f64 v[4:5], null, v[6:7], v[6:7], -1.0
	s_delay_alu instid0(VALU_DEP_1) | instskip(SKIP_1) | instid1(TRANS32_DEP_1)
	v_rcp_f64_e32 v[8:9], v[4:5]
	v_nop
	v_fma_f64 v[12:13], -v[4:5], v[8:9], 1.0
	s_delay_alu instid0(VALU_DEP_1) | instskip(NEXT) | instid1(VALU_DEP_1)
	v_fmac_f64_e32 v[8:9], v[8:9], v[12:13]
	v_fma_f64 v[12:13], -v[4:5], v[8:9], 1.0
	s_delay_alu instid0(VALU_DEP_1) | instskip(SKIP_1) | instid1(VALU_DEP_1)
	v_fmac_f64_e32 v[8:9], v[8:9], v[12:13]
	v_div_scale_f64 v[12:13], vcc_lo, -1.0, v[6:7], -1.0
	v_mul_f64_e32 v[14:15], v[12:13], v[8:9]
	s_delay_alu instid0(VALU_DEP_1) | instskip(NEXT) | instid1(VALU_DEP_1)
	v_fma_f64 v[4:5], -v[4:5], v[14:15], v[12:13]
	v_div_fmas_f64 v[4:5], v[4:5], v[8:9], v[14:15]
                                        ; implicit-def: $vgpr8_vgpr9
	s_delay_alu instid0(VALU_DEP_1) | instskip(NEXT) | instid1(VALU_DEP_1)
	v_div_fixup_f64 v[4:5], v[4:5], v[6:7], -1.0
	v_cmp_ngt_f64_e64 s0, |v[4:5]|, s[0:1]
	s_wait_xcnt 0x0
	s_and_saveexec_b32 s1, s0
	s_delay_alu instid0(SALU_CYCLE_1)
	s_xor_b32 s0, exec_lo, s1
; %bb.46:
	v_mul_f64_e32 v[8:9], s[12:13], v[2:3]
                                        ; implicit-def: $vgpr4_vgpr5
                                        ; implicit-def: $vgpr2_vgpr3
; %bb.47:
	s_or_saveexec_b32 s1, s0
	v_ashrrev_i32_e32 v67, 31, v66
	v_lshl_add_u64 v[6:7], v[16:17], 3, s[8:9]
	s_xor_b32 exec_lo, exec_lo, s1
	s_cbranch_execz .LBB0_49
; %bb.48:
	v_mul_f64_e32 v[8:9], s[12:13], v[4:5]
	s_mov_b64 s[2:3], 0x3e5ade156a5dcb37
	s_delay_alu instid0(VALU_DEP_1) | instskip(SKIP_2) | instid1(VALU_DEP_3)
	v_mul_f64_e32 v[12:13], 0x3ff71547652b82fe, v[8:9]
	v_cmp_nlt_f64_e32 vcc_lo, 0x40900000, v[8:9]
	v_cmp_ngt_f64_e64 s0, 0xc090cc00, v[8:9]
	v_rndne_f64_e32 v[12:13], v[12:13]
	s_delay_alu instid0(VALU_DEP_1) | instskip(SKIP_1) | instid1(VALU_DEP_2)
	v_fmamk_f64 v[14:15], v[12:13], 0xbfe62e42fefa39ef, v[8:9]
	v_cvt_i32_f64_e32 v10, v[12:13]
	v_fmamk_f64 v[14:15], v[12:13], 0xbc7abc9e3b39803f, v[14:15]
	s_delay_alu instid0(VALU_DEP_1) | instskip(NEXT) | instid1(VALU_DEP_1)
	v_fmaak_f64 v[16:17], s[2:3], v[14:15], 0x3e928af3fca7ab0c
	v_fmaak_f64 v[16:17], v[14:15], v[16:17], 0x3ec71dee623fde64
	s_delay_alu instid0(VALU_DEP_1) | instskip(NEXT) | instid1(VALU_DEP_1)
	v_fmaak_f64 v[16:17], v[14:15], v[16:17], 0x3efa01997c89e6b0
	v_fmaak_f64 v[16:17], v[14:15], v[16:17], 0x3f2a01a014761f6e
	;; [unrolled: 3-line block ×4, first 2 shown]
	s_delay_alu instid0(VALU_DEP_1) | instskip(NEXT) | instid1(VALU_DEP_1)
	v_fmaak_f64 v[16:17], v[14:15], v[16:17], 0x3fe000000000000b
	v_fma_f64 v[16:17], v[14:15], v[16:17], 1.0
	s_delay_alu instid0(VALU_DEP_1) | instskip(NEXT) | instid1(VALU_DEP_1)
	v_fma_f64 v[12:13], v[14:15], v[16:17], 1.0
	v_ldexp_f64 v[12:13], v[12:13], v10
	s_delay_alu instid0(VALU_DEP_1) | instskip(NEXT) | instid1(VALU_DEP_1)
	v_add_f64_e32 v[12:13], -1.0, v[12:13]
	v_cndmask_b32_e32 v10, 0x7ff00000, v13, vcc_lo
	s_and_b32 vcc_lo, s0, vcc_lo
	s_delay_alu instid0(VALU_DEP_2) | instskip(NEXT) | instid1(VALU_DEP_2)
	v_cndmask_b32_e32 v8, 0, v12, vcc_lo
	v_cndmask_b32_e64 v9, 0xbff00000, v10, s0
	s_delay_alu instid0(VALU_DEP_1) | instskip(NEXT) | instid1(VALU_DEP_1)
	v_mul_f64_e32 v[2:3], v[2:3], v[8:9]
	v_div_scale_f64 v[8:9], null, v[4:5], v[4:5], v[2:3]
	s_delay_alu instid0(VALU_DEP_1) | instskip(SKIP_1) | instid1(TRANS32_DEP_1)
	v_rcp_f64_e32 v[12:13], v[8:9]
	v_nop
	v_fma_f64 v[14:15], -v[8:9], v[12:13], 1.0
	s_delay_alu instid0(VALU_DEP_1) | instskip(NEXT) | instid1(VALU_DEP_1)
	v_fmac_f64_e32 v[12:13], v[12:13], v[14:15]
	v_fma_f64 v[14:15], -v[8:9], v[12:13], 1.0
	s_delay_alu instid0(VALU_DEP_1) | instskip(SKIP_1) | instid1(VALU_DEP_1)
	v_fmac_f64_e32 v[12:13], v[12:13], v[14:15]
	v_div_scale_f64 v[14:15], vcc_lo, v[2:3], v[4:5], v[2:3]
	v_mul_f64_e32 v[16:17], v[14:15], v[12:13]
	s_delay_alu instid0(VALU_DEP_1) | instskip(NEXT) | instid1(VALU_DEP_1)
	v_fma_f64 v[8:9], -v[8:9], v[16:17], v[14:15]
	v_div_fmas_f64 v[8:9], v[8:9], v[12:13], v[16:17]
	s_delay_alu instid0(VALU_DEP_1)
	v_div_fixup_f64 v[8:9], v[8:9], v[4:5], v[2:3]
.LBB0_49:
	s_or_b32 exec_lo, exec_lo, s1
	scratch_load_b64 v[2:3], off, off offset:40 ; 8-byte Folded Reload
	v_mov_b64_e32 v[28:29], 0x3e928af3fca7ab0c
	v_mov_b64_e32 v[26:27], 0x3ec71dee623fde64
	;; [unrolled: 1-line block ×6, first 2 shown]
	s_wait_loadcnt 0x0
	v_add_f64_e32 v[2:3], v[2:3], v[8:9]
	v_mov_b64_e32 v[8:9], 0x3fa55555555502a1
	global_store_b64 v[6:7], v[2:3], off
	s_wait_xcnt 0x0
	v_add_f64_e32 v[2:3], 4.0, v[76:77]
	s_delay_alu instid0(VALU_DEP_1) | instskip(SKIP_1) | instid1(VALU_DEP_2)
	v_mul_f64_e32 v[4:5], 0x3ff71547652b82fe, v[2:3]
	v_cmp_ngt_f64_e64 s0, 0xc090cc00, v[2:3]
	v_rndne_f64_e32 v[32:33], v[4:5]
	s_delay_alu instid0(VALU_DEP_1) | instskip(SKIP_1) | instid1(VALU_DEP_2)
	v_fmamk_f64 v[38:39], v[32:33], 0xbfe62e42fefa39ef, v[2:3]
	v_cvt_i32_f64_e32 v10, v[32:33]
	v_fmac_f64_e32 v[38:39], 0xbc7abc9e3b39803f, v[32:33]
	s_delay_alu instid0(VALU_DEP_1) | instskip(NEXT) | instid1(VALU_DEP_1)
	v_fmamk_f64 v[4:5], v[38:39], 0x3e5ade156a5dcb37, v[28:29]
	v_fmaak_f64 v[4:5], v[38:39], v[4:5], 0x3ec71dee623fde64
	s_delay_alu instid0(VALU_DEP_1) | instskip(NEXT) | instid1(VALU_DEP_1)
	v_fmaak_f64 v[4:5], v[38:39], v[4:5], 0x3efa01997c89e6b0
	v_fmaak_f64 v[4:5], v[38:39], v[4:5], 0x3f2a01a014761f6e
	s_delay_alu instid0(VALU_DEP_1) | instskip(NEXT) | instid1(VALU_DEP_1)
	v_fmaak_f64 v[4:5], v[38:39], v[4:5], 0x3f56c16c1852b7b0
	v_fmaak_f64 v[4:5], v[38:39], v[4:5], 0x3f81111111122322
	s_delay_alu instid0(VALU_DEP_1) | instskip(SKIP_1) | instid1(VALU_DEP_2)
	v_fmaak_f64 v[6:7], v[38:39], v[4:5], 0x3fa55555555502a1
	v_mov_b64_e32 v[4:5], 0x3fc5555555555511
	v_fmaak_f64 v[42:43], v[38:39], v[6:7], 0x3fc5555555555511
	v_mov_b64_e32 v[6:7], 0x3fe000000000000b
	s_delay_alu instid0(VALU_DEP_2) | instskip(NEXT) | instid1(VALU_DEP_1)
	v_fmaak_f64 v[42:43], v[38:39], v[42:43], 0x3fe000000000000b
	v_fma_f64 v[42:43], v[38:39], v[42:43], 1.0
	s_delay_alu instid0(VALU_DEP_1) | instskip(NEXT) | instid1(VALU_DEP_1)
	v_fma_f64 v[38:39], v[38:39], v[42:43], 1.0
	v_ldexp_f64 v[32:33], v[38:39], v10
	s_delay_alu instid0(VALU_DEP_1) | instskip(NEXT) | instid1(VALU_DEP_1)
	v_add_f64_e32 v[32:33], 1.0, v[32:33]
	v_div_scale_f64 v[38:39], null, v[32:33], v[32:33], 1.0
	s_delay_alu instid0(VALU_DEP_1) | instskip(SKIP_1) | instid1(TRANS32_DEP_1)
	v_rcp_f64_e32 v[42:43], v[38:39]
	v_nop
	v_fma_f64 v[44:45], -v[38:39], v[42:43], 1.0
	s_delay_alu instid0(VALU_DEP_1) | instskip(NEXT) | instid1(VALU_DEP_1)
	v_fmac_f64_e32 v[42:43], v[42:43], v[44:45]
	v_fma_f64 v[44:45], -v[38:39], v[42:43], 1.0
	s_delay_alu instid0(VALU_DEP_1) | instskip(SKIP_1) | instid1(VALU_DEP_1)
	v_fmac_f64_e32 v[42:43], v[42:43], v[44:45]
	v_div_scale_f64 v[44:45], vcc_lo, 1.0, v[32:33], 1.0
	v_mul_f64_e32 v[46:47], v[44:45], v[42:43]
	s_delay_alu instid0(VALU_DEP_1) | instskip(NEXT) | instid1(VALU_DEP_1)
	v_fma_f64 v[38:39], -v[38:39], v[46:47], v[44:45]
	v_div_fmas_f64 v[38:39], v[38:39], v[42:43], v[46:47]
	v_cmp_nlt_f64_e32 vcc_lo, 0x40900000, v[2:3]
	s_delay_alu instid0(VALU_DEP_2) | instskip(NEXT) | instid1(VALU_DEP_1)
	v_div_fixup_f64 v[32:33], v[38:39], v[32:33], 1.0
	v_cndmask_b32_e32 v10, 0, v33, vcc_lo
	s_and_b32 vcc_lo, s0, vcc_lo
	s_delay_alu instid0(VALU_DEP_2) | instskip(SKIP_1) | instid1(VALU_DEP_3)
	v_cndmask_b32_e32 v2, 0, v32, vcc_lo
	v_add_f64_e32 v[32:33], -4.0, v[76:77]
	v_cndmask_b32_e64 v3, 0x3ff00000, v10, s0
	s_delay_alu instid0(VALU_DEP_1) | instskip(NEXT) | instid1(VALU_DEP_3)
	v_add_f64_e64 v[2:3], v[2:3], -v[34:35]
	v_mul_f64_e32 v[38:39], 0x3ff71547652b82fe, v[32:33]
	v_cmp_ngt_f64_e64 s0, 0xc090cc00, v[32:33]
	s_delay_alu instid0(VALU_DEP_2) | instskip(NEXT) | instid1(VALU_DEP_1)
	v_rndne_f64_e32 v[38:39], v[38:39]
	v_fmamk_f64 v[42:43], v[38:39], 0xbfe62e42fefa39ef, v[32:33]
	v_cvt_i32_f64_e32 v10, v[38:39]
	s_delay_alu instid0(VALU_DEP_2) | instskip(NEXT) | instid1(VALU_DEP_1)
	v_fmac_f64_e32 v[42:43], 0xbc7abc9e3b39803f, v[38:39]
	v_fmamk_f64 v[44:45], v[42:43], 0x3e5ade156a5dcb37, v[28:29]
	s_delay_alu instid0(VALU_DEP_1) | instskip(NEXT) | instid1(VALU_DEP_1)
	v_fmaak_f64 v[44:45], v[42:43], v[44:45], 0x3ec71dee623fde64
	v_fmaak_f64 v[44:45], v[42:43], v[44:45], 0x3efa01997c89e6b0
	s_delay_alu instid0(VALU_DEP_1) | instskip(NEXT) | instid1(VALU_DEP_1)
	v_fmaak_f64 v[44:45], v[42:43], v[44:45], 0x3f2a01a014761f6e
	v_fmaak_f64 v[44:45], v[42:43], v[44:45], 0x3f56c16c1852b7b0
	;; [unrolled: 3-line block ×4, first 2 shown]
	s_delay_alu instid0(VALU_DEP_1) | instskip(NEXT) | instid1(VALU_DEP_1)
	v_fma_f64 v[44:45], v[42:43], v[44:45], 1.0
	v_fma_f64 v[42:43], v[42:43], v[44:45], 1.0
	s_delay_alu instid0(VALU_DEP_1) | instskip(NEXT) | instid1(VALU_DEP_1)
	v_ldexp_f64 v[38:39], v[42:43], v10
	v_add_f64_e32 v[38:39], 1.0, v[38:39]
	s_delay_alu instid0(VALU_DEP_1) | instskip(NEXT) | instid1(VALU_DEP_1)
	v_div_scale_f64 v[42:43], null, v[38:39], v[38:39], 0x40140000
	v_rcp_f64_e32 v[44:45], v[42:43]
	v_nop
	s_delay_alu instid0(TRANS32_DEP_1) | instskip(NEXT) | instid1(VALU_DEP_1)
	v_fma_f64 v[46:47], -v[42:43], v[44:45], 1.0
	v_fmac_f64_e32 v[44:45], v[44:45], v[46:47]
	s_delay_alu instid0(VALU_DEP_1) | instskip(NEXT) | instid1(VALU_DEP_1)
	v_fma_f64 v[46:47], -v[42:43], v[44:45], 1.0
	v_fmac_f64_e32 v[44:45], v[44:45], v[46:47]
	v_div_scale_f64 v[46:47], vcc_lo, 0x40140000, v[38:39], 0x40140000
	s_delay_alu instid0(VALU_DEP_1) | instskip(NEXT) | instid1(VALU_DEP_1)
	v_mul_f64_e32 v[54:55], v[46:47], v[44:45]
	v_fma_f64 v[42:43], -v[42:43], v[54:55], v[46:47]
	s_delay_alu instid0(VALU_DEP_1) | instskip(SKIP_1) | instid1(VALU_DEP_2)
	v_div_fmas_f64 v[42:43], v[42:43], v[44:45], v[54:55]
	v_cmp_nlt_f64_e32 vcc_lo, 0x40900000, v[32:33]
	v_div_fixup_f64 v[38:39], v[42:43], v[38:39], 0x40140000
	s_delay_alu instid0(VALU_DEP_1) | instskip(NEXT) | instid1(VALU_DEP_1)
	v_add_f64_e32 v[38:39], 0x40080000, v[38:39]
	v_cndmask_b32_e32 v10, 0x40080000, v39, vcc_lo
	s_and_b32 vcc_lo, s0, vcc_lo
	s_delay_alu instid0(VALU_DEP_2) | instskip(SKIP_1) | instid1(VALU_DEP_3)
	v_cndmask_b32_e32 v32, 0, v38, vcc_lo
	v_add_f64_e32 v[38:39], 0x40468000, v[0:1]
	v_cndmask_b32_e64 v33, 0x40200000, v10, s0
	s_delay_alu instid0(VALU_DEP_2) | instskip(NEXT) | instid1(VALU_DEP_1)
	v_mul_f64_e32 v[38:39], v[38:39], v[38:39]
	v_div_scale_f64 v[42:43], null, 0xc0740000, 0xc0740000, v[38:39]
	s_delay_alu instid0(VALU_DEP_1) | instskip(SKIP_1) | instid1(TRANS32_DEP_1)
	v_rcp_f64_e32 v[44:45], v[42:43]
	v_nop
	v_fma_f64 v[46:47], -v[42:43], v[44:45], 1.0
	s_delay_alu instid0(VALU_DEP_1) | instskip(NEXT) | instid1(VALU_DEP_1)
	v_fmac_f64_e32 v[44:45], v[44:45], v[46:47]
	v_fma_f64 v[46:47], -v[42:43], v[44:45], 1.0
	s_delay_alu instid0(VALU_DEP_1) | instskip(SKIP_1) | instid1(VALU_DEP_1)
	v_fmac_f64_e32 v[44:45], v[44:45], v[46:47]
	v_div_scale_f64 v[46:47], vcc_lo, v[38:39], 0xc0740000, v[38:39]
	v_mul_f64_e32 v[54:55], v[46:47], v[44:45]
	s_delay_alu instid0(VALU_DEP_1) | instskip(NEXT) | instid1(VALU_DEP_1)
	v_fma_f64 v[42:43], -v[42:43], v[54:55], v[46:47]
	v_div_fmas_f64 v[42:43], v[42:43], v[44:45], v[54:55]
	s_delay_alu instid0(VALU_DEP_1) | instskip(NEXT) | instid1(VALU_DEP_1)
	v_div_fixup_f64 v[38:39], v[42:43], 0xc0740000, v[38:39]
	v_mul_f64_e32 v[42:43], 0x3ff71547652b82fe, v[38:39]
	v_cmp_nlt_f64_e32 vcc_lo, 0x40900000, v[38:39]
	v_cmp_ngt_f64_e64 s0, 0xc090cc00, v[38:39]
	s_delay_alu instid0(VALU_DEP_3) | instskip(NEXT) | instid1(VALU_DEP_1)
	v_rndne_f64_e32 v[42:43], v[42:43]
	v_fmamk_f64 v[44:45], v[42:43], 0xbfe62e42fefa39ef, v[38:39]
	s_delay_alu instid0(VALU_DEP_1) | instskip(NEXT) | instid1(VALU_DEP_1)
	v_fmac_f64_e32 v[44:45], 0xbc7abc9e3b39803f, v[42:43]
	v_fmac_f64_e32 v[28:29], 0x3e5ade156a5dcb37, v[44:45]
	s_delay_alu instid0(VALU_DEP_1) | instskip(NEXT) | instid1(VALU_DEP_1)
	v_fmac_f64_e32 v[26:27], v[44:45], v[28:29]
	v_fmac_f64_e32 v[20:21], v[44:45], v[26:27]
	;; [unrolled: 3-line block ×5, first 2 shown]
	s_delay_alu instid0(VALU_DEP_1) | instskip(SKIP_1) | instid1(VALU_DEP_2)
	v_fma_f64 v[4:5], v[44:45], v[6:7], 1.0
	v_cvt_i32_f64_e32 v6, v[42:43]
	v_fma_f64 v[4:5], v[44:45], v[4:5], 1.0
	s_delay_alu instid0(VALU_DEP_1) | instskip(NEXT) | instid1(VALU_DEP_1)
	v_ldexp_f64 v[4:5], v[4:5], v6
	v_mul_f64_e32 v[4:5], 0x40554000, v[4:5]
	s_delay_alu instid0(VALU_DEP_1)
	v_cndmask_b32_e32 v5, 0x7ff00000, v5, vcc_lo
	s_and_b32 vcc_lo, s0, vcc_lo
	s_delay_alu instid0(VALU_DEP_1) | instid1(SALU_CYCLE_1)
	v_dual_cndmask_b32 v4, 0, v4, vcc_lo :: v_dual_cndmask_b32 v5, 0, v5, s0
	s_mov_b64 s[0:1], 0x3e45798ee2308c3a
	s_delay_alu instid0(VALU_DEP_1) | instskip(NEXT) | instid1(VALU_DEP_1)
	v_add_f64_e32 v[4:5], v[4:5], v[32:33]
	v_div_scale_f64 v[6:7], null, v[4:5], v[4:5], v[2:3]
	s_delay_alu instid0(VALU_DEP_1) | instskip(SKIP_1) | instid1(TRANS32_DEP_1)
	v_rcp_f64_e32 v[8:9], v[6:7]
	v_nop
	v_fma_f64 v[12:13], -v[6:7], v[8:9], 1.0
	s_delay_alu instid0(VALU_DEP_1) | instskip(NEXT) | instid1(VALU_DEP_1)
	v_fmac_f64_e32 v[8:9], v[8:9], v[12:13]
	v_fma_f64 v[12:13], -v[6:7], v[8:9], 1.0
	s_delay_alu instid0(VALU_DEP_1) | instskip(SKIP_1) | instid1(VALU_DEP_1)
	v_fmac_f64_e32 v[8:9], v[8:9], v[12:13]
	v_div_scale_f64 v[12:13], vcc_lo, v[2:3], v[4:5], v[2:3]
	v_mul_f64_e32 v[14:15], v[12:13], v[8:9]
	s_delay_alu instid0(VALU_DEP_1) | instskip(NEXT) | instid1(VALU_DEP_1)
	v_fma_f64 v[6:7], -v[6:7], v[14:15], v[12:13]
	v_div_fmas_f64 v[6:7], v[6:7], v[8:9], v[14:15]
	s_delay_alu instid0(VALU_DEP_1) | instskip(SKIP_1) | instid1(VALU_DEP_1)
	v_div_fixup_f64 v[6:7], v[6:7], v[4:5], v[2:3]
	v_div_scale_f64 v[2:3], null, v[4:5], v[4:5], -1.0
	v_rcp_f64_e32 v[8:9], v[2:3]
	v_nop
	s_delay_alu instid0(TRANS32_DEP_1) | instskip(NEXT) | instid1(VALU_DEP_1)
	v_fma_f64 v[12:13], -v[2:3], v[8:9], 1.0
	v_fmac_f64_e32 v[8:9], v[8:9], v[12:13]
	s_delay_alu instid0(VALU_DEP_1) | instskip(NEXT) | instid1(VALU_DEP_1)
	v_fma_f64 v[12:13], -v[2:3], v[8:9], 1.0
	v_fmac_f64_e32 v[8:9], v[8:9], v[12:13]
	v_div_scale_f64 v[12:13], vcc_lo, -1.0, v[4:5], -1.0
	s_delay_alu instid0(VALU_DEP_1) | instskip(NEXT) | instid1(VALU_DEP_1)
	v_mul_f64_e32 v[14:15], v[12:13], v[8:9]
	v_fma_f64 v[2:3], -v[2:3], v[14:15], v[12:13]
	s_delay_alu instid0(VALU_DEP_1) | instskip(NEXT) | instid1(VALU_DEP_1)
	v_div_fmas_f64 v[2:3], v[2:3], v[8:9], v[14:15]
	v_div_fixup_f64 v[8:9], v[2:3], v[4:5], -1.0
                                        ; implicit-def: $vgpr4_vgpr5
	s_delay_alu instid0(VALU_DEP_1) | instskip(SKIP_1) | instid1(SALU_CYCLE_1)
	v_cmp_ngt_f64_e64 s0, |v[8:9]|, s[0:1]
	s_and_saveexec_b32 s1, s0
	s_xor_b32 s0, exec_lo, s1
; %bb.50:
	v_mul_f64_e32 v[4:5], s[12:13], v[6:7]
                                        ; implicit-def: $vgpr8_vgpr9
                                        ; implicit-def: $vgpr6_vgpr7
; %bb.51:
	s_or_saveexec_b32 s1, s0
	v_ashrrev_i32_e32 v99, 31, v98
	v_lshl_add_u64 v[2:3], v[66:67], 3, s[8:9]
	s_xor_b32 exec_lo, exec_lo, s1
	s_cbranch_execz .LBB0_53
; %bb.52:
	v_mul_f64_e32 v[4:5], s[12:13], v[8:9]
	s_mov_b64 s[2:3], 0x3e5ade156a5dcb37
	s_delay_alu instid0(VALU_DEP_1) | instskip(SKIP_2) | instid1(VALU_DEP_3)
	v_mul_f64_e32 v[12:13], 0x3ff71547652b82fe, v[4:5]
	v_cmp_nlt_f64_e32 vcc_lo, 0x40900000, v[4:5]
	v_cmp_ngt_f64_e64 s0, 0xc090cc00, v[4:5]
	v_rndne_f64_e32 v[12:13], v[12:13]
	s_delay_alu instid0(VALU_DEP_1) | instskip(SKIP_1) | instid1(VALU_DEP_2)
	v_fmamk_f64 v[14:15], v[12:13], 0xbfe62e42fefa39ef, v[4:5]
	v_cvt_i32_f64_e32 v10, v[12:13]
	v_fmamk_f64 v[14:15], v[12:13], 0xbc7abc9e3b39803f, v[14:15]
	s_delay_alu instid0(VALU_DEP_1) | instskip(NEXT) | instid1(VALU_DEP_1)
	v_fmaak_f64 v[16:17], s[2:3], v[14:15], 0x3e928af3fca7ab0c
	v_fmaak_f64 v[16:17], v[14:15], v[16:17], 0x3ec71dee623fde64
	s_delay_alu instid0(VALU_DEP_1) | instskip(NEXT) | instid1(VALU_DEP_1)
	v_fmaak_f64 v[16:17], v[14:15], v[16:17], 0x3efa01997c89e6b0
	v_fmaak_f64 v[16:17], v[14:15], v[16:17], 0x3f2a01a014761f6e
	;; [unrolled: 3-line block ×4, first 2 shown]
	s_delay_alu instid0(VALU_DEP_1) | instskip(NEXT) | instid1(VALU_DEP_1)
	v_fmaak_f64 v[16:17], v[14:15], v[16:17], 0x3fe000000000000b
	v_fma_f64 v[16:17], v[14:15], v[16:17], 1.0
	s_delay_alu instid0(VALU_DEP_1) | instskip(NEXT) | instid1(VALU_DEP_1)
	v_fma_f64 v[12:13], v[14:15], v[16:17], 1.0
	v_ldexp_f64 v[12:13], v[12:13], v10
	s_delay_alu instid0(VALU_DEP_1) | instskip(NEXT) | instid1(VALU_DEP_1)
	v_add_f64_e32 v[12:13], -1.0, v[12:13]
	v_cndmask_b32_e32 v10, 0x7ff00000, v13, vcc_lo
	s_and_b32 vcc_lo, s0, vcc_lo
	s_delay_alu instid0(VALU_DEP_2) | instskip(NEXT) | instid1(VALU_DEP_2)
	v_cndmask_b32_e32 v4, 0, v12, vcc_lo
	v_cndmask_b32_e64 v5, 0xbff00000, v10, s0
	s_delay_alu instid0(VALU_DEP_1) | instskip(NEXT) | instid1(VALU_DEP_1)
	v_mul_f64_e32 v[4:5], v[6:7], v[4:5]
	v_div_scale_f64 v[6:7], null, v[8:9], v[8:9], v[4:5]
	s_delay_alu instid0(VALU_DEP_1) | instskip(SKIP_1) | instid1(TRANS32_DEP_1)
	v_rcp_f64_e32 v[12:13], v[6:7]
	v_nop
	v_fma_f64 v[14:15], -v[6:7], v[12:13], 1.0
	s_delay_alu instid0(VALU_DEP_1) | instskip(NEXT) | instid1(VALU_DEP_1)
	v_fmac_f64_e32 v[12:13], v[12:13], v[14:15]
	v_fma_f64 v[14:15], -v[6:7], v[12:13], 1.0
	s_delay_alu instid0(VALU_DEP_1) | instskip(SKIP_1) | instid1(VALU_DEP_1)
	v_fmac_f64_e32 v[12:13], v[12:13], v[14:15]
	v_div_scale_f64 v[14:15], vcc_lo, v[4:5], v[8:9], v[4:5]
	v_mul_f64_e32 v[16:17], v[14:15], v[12:13]
	s_delay_alu instid0(VALU_DEP_1) | instskip(NEXT) | instid1(VALU_DEP_1)
	v_fma_f64 v[6:7], -v[6:7], v[16:17], v[14:15]
	v_div_fmas_f64 v[6:7], v[6:7], v[12:13], v[16:17]
	s_delay_alu instid0(VALU_DEP_1)
	v_div_fixup_f64 v[4:5], v[6:7], v[8:9], v[4:5]
.LBB0_53:
	s_or_b32 exec_lo, exec_lo, s1
	s_mov_b64 s[0:1], 0x400aaaaaaaaaaaab
	v_mov_b64_e32 v[14:15], 0x3e928af3fca7ab0c
	v_add_f64_e64 v[6:7], -v[24:25], s[0:1]
	s_mov_b64 s[2:3], 0x4023000000000000
	s_delay_alu instid0(VALU_DEP_3) | instskip(NEXT) | instid1(VALU_DEP_2)
	v_add_f64_e32 v[4:5], v[34:35], v[4:5]
	v_mul_f64_e32 v[8:9], 0x3ff71547652b82fe, v[6:7]
	global_store_b64 v[2:3], v[4:5], off
                                        ; implicit-def: $vgpr4_vgpr5
	v_rndne_f64_e32 v[8:9], v[8:9]
	s_delay_alu instid0(VALU_DEP_1) | instskip(SKIP_1) | instid1(VALU_DEP_2)
	v_fmamk_f64 v[12:13], v[8:9], 0xbfe62e42fefa39ef, v[6:7]
	v_cvt_i32_f64_e32 v10, v[8:9]
	v_fmac_f64_e32 v[12:13], 0xbc7abc9e3b39803f, v[8:9]
	s_delay_alu instid0(VALU_DEP_1) | instskip(NEXT) | instid1(VALU_DEP_1)
	v_fmamk_f64 v[16:17], v[12:13], 0x3e5ade156a5dcb37, v[14:15]
	v_fmaak_f64 v[16:17], v[12:13], v[16:17], 0x3ec71dee623fde64
	s_delay_alu instid0(VALU_DEP_1) | instskip(NEXT) | instid1(VALU_DEP_1)
	v_fmaak_f64 v[16:17], v[12:13], v[16:17], 0x3efa01997c89e6b0
	v_fmaak_f64 v[16:17], v[12:13], v[16:17], 0x3f2a01a014761f6e
	s_delay_alu instid0(VALU_DEP_1) | instskip(NEXT) | instid1(VALU_DEP_1)
	v_fmaak_f64 v[16:17], v[12:13], v[16:17], 0x3f56c16c1852b7b0
	;; [unrolled: 3-line block ×4, first 2 shown]
	v_fma_f64 v[16:17], v[12:13], v[16:17], 1.0
	s_delay_alu instid0(VALU_DEP_1) | instskip(SKIP_1) | instid1(VALU_DEP_2)
	v_fma_f64 v[8:9], v[12:13], v[16:17], 1.0
	v_add_f64_e32 v[12:13], 0x40440000, v[0:1]
	v_ldexp_f64 v[8:9], v[8:9], v10
	s_delay_alu instid0(VALU_DEP_2) | instskip(NEXT) | instid1(VALU_DEP_2)
	v_mul_f64_e32 v[12:13], v[12:13], v[12:13]
	v_add_f64_e32 v[8:9], 1.0, v[8:9]
	s_delay_alu instid0(VALU_DEP_2) | instskip(NEXT) | instid1(VALU_DEP_2)
	v_div_scale_f64 v[20:21], null, 0xc09c2000, 0xc09c2000, v[12:13]
	v_div_scale_f64 v[16:17], null, v[8:9], v[8:9], 1.0
	s_delay_alu instid0(VALU_DEP_2) | instskip(SKIP_1) | instid1(VALU_DEP_2)
	v_rcp_f64_e32 v[26:27], v[20:21]
	v_div_scale_f64 v[38:39], vcc_lo, 1.0, v[8:9], 1.0
	v_rcp_f64_e32 v[24:25], v[16:17]
	s_delay_alu instid0(TRANS32_DEP_2) | instskip(NEXT) | instid1(TRANS32_DEP_1)
	v_fma_f64 v[32:33], -v[20:21], v[26:27], 1.0
	v_fma_f64 v[28:29], -v[16:17], v[24:25], 1.0
	s_delay_alu instid0(VALU_DEP_2) | instskip(NEXT) | instid1(VALU_DEP_2)
	v_fmac_f64_e32 v[26:27], v[26:27], v[32:33]
	v_fmac_f64_e32 v[24:25], v[24:25], v[28:29]
	s_delay_alu instid0(VALU_DEP_2) | instskip(NEXT) | instid1(VALU_DEP_2)
	v_fma_f64 v[32:33], -v[20:21], v[26:27], 1.0
	v_fma_f64 v[28:29], -v[16:17], v[24:25], 1.0
	s_delay_alu instid0(VALU_DEP_2) | instskip(NEXT) | instid1(VALU_DEP_2)
	v_fmac_f64_e32 v[26:27], v[26:27], v[32:33]
	v_fmac_f64_e32 v[24:25], v[24:25], v[28:29]
	v_div_scale_f64 v[28:29], s0, v[12:13], 0xc09c2000, v[12:13]
	s_delay_alu instid0(VALU_DEP_2) | instskip(NEXT) | instid1(VALU_DEP_2)
	v_mul_f64_e32 v[32:33], v[38:39], v[24:25]
	v_mul_f64_e32 v[42:43], v[28:29], v[26:27]
	s_delay_alu instid0(VALU_DEP_2) | instskip(NEXT) | instid1(VALU_DEP_2)
	v_fma_f64 v[16:17], -v[16:17], v[32:33], v[38:39]
	v_fma_f64 v[20:21], -v[20:21], v[42:43], v[28:29]
	s_delay_alu instid0(VALU_DEP_2) | instskip(SKIP_2) | instid1(VALU_DEP_3)
	v_div_fmas_f64 v[16:17], v[16:17], v[24:25], v[32:33]
	s_mov_b32 vcc_lo, s0
	v_cmp_ngt_f64_e64 s0, 0xc090cc00, v[6:7]
	v_div_fmas_f64 v[20:21], v[20:21], v[26:27], v[42:43]
	v_mov_b64_e32 v[26:27], 0x3ec71dee623fde64
	v_cmp_nlt_f64_e32 vcc_lo, 0x40900000, v[6:7]
	s_delay_alu instid0(VALU_DEP_3) | instskip(NEXT) | instid1(VALU_DEP_1)
	v_div_fixup_f64 v[12:13], v[20:21], 0xc09c2000, v[12:13]
	v_mul_f64_e32 v[20:21], 0x3ff71547652b82fe, v[12:13]
	v_cmp_nlt_f64_e64 s1, 0x40900000, v[12:13]
	s_delay_alu instid0(VALU_DEP_2) | instskip(NEXT) | instid1(VALU_DEP_1)
	v_rndne_f64_e32 v[20:21], v[20:21]
	v_fmamk_f64 v[24:25], v[20:21], 0xbfe62e42fefa39ef, v[12:13]
	v_cvt_i32_f64_e32 v10, v[20:21]
	s_delay_alu instid0(VALU_DEP_2) | instskip(NEXT) | instid1(VALU_DEP_1)
	v_fmac_f64_e32 v[24:25], 0xbc7abc9e3b39803f, v[20:21]
	v_fmac_f64_e32 v[14:15], 0x3e5ade156a5dcb37, v[24:25]
	s_delay_alu instid0(VALU_DEP_1) | instskip(SKIP_1) | instid1(VALU_DEP_1)
	v_fmac_f64_e32 v[26:27], v[24:25], v[14:15]
	v_mov_b64_e32 v[14:15], 0x3efa01997c89e6b0
	v_fmac_f64_e32 v[14:15], v[24:25], v[26:27]
	v_mov_b64_e32 v[26:27], 0x3f2a01a014761f6e
	s_delay_alu instid0(VALU_DEP_1) | instskip(SKIP_1) | instid1(VALU_DEP_1)
	v_fmac_f64_e32 v[26:27], v[24:25], v[14:15]
	v_mov_b64_e32 v[14:15], 0x3f56c16c1852b7b0
	v_fmac_f64_e32 v[14:15], v[24:25], v[26:27]
	v_mov_b64_e32 v[26:27], 0x3f81111111122322
	;; [unrolled: 5-line block ×3, first 2 shown]
	s_delay_alu instid0(VALU_DEP_1) | instskip(SKIP_1) | instid1(VALU_DEP_1)
	v_fmac_f64_e32 v[26:27], v[24:25], v[14:15]
	v_mov_b64_e32 v[14:15], 0x3fe000000000000b
	v_fmac_f64_e32 v[14:15], v[24:25], v[26:27]
	s_delay_alu instid0(VALU_DEP_1) | instskip(NEXT) | instid1(VALU_DEP_1)
	v_fma_f64 v[14:15], v[24:25], v[14:15], 1.0
	v_fma_f64 v[14:15], v[24:25], v[14:15], 1.0
	s_delay_alu instid0(VALU_DEP_1) | instskip(SKIP_2) | instid1(VALU_DEP_1)
	v_ldexp_f64 v[14:15], v[14:15], v10
	scratch_load_b64 v[10:11], off, off offset:80 ; 8-byte Folded Reload
	v_fmaak_f64 v[6:7], s[2:3], v[14:15], 0x3fe999999999999a
	v_cndmask_b32_e64 v6, 0, v6, s1
	v_div_fixup_f64 v[8:9], v[16:17], v[8:9], 1.0
	s_delay_alu instid0(VALU_DEP_3) | instskip(NEXT) | instid1(VALU_DEP_2)
	v_cndmask_b32_e64 v7, 0x7ff00000, v7, s1
	v_cndmask_b32_e32 v9, 0, v9, vcc_lo
	s_and_b32 vcc_lo, s0, vcc_lo
	s_delay_alu instid0(VALU_DEP_3) | instskip(SKIP_1) | instid1(VALU_DEP_3)
	v_cndmask_b32_e32 v8, 0, v8, vcc_lo
	v_cmp_ngt_f64_e32 vcc_lo, 0xc090cc00, v[12:13]
	v_cndmask_b32_e64 v9, 0x3ff00000, v9, s0
	v_cndmask_b32_e32 v13, 0x3fe99999, v7, vcc_lo
	v_cndmask_b32_e32 v12, 0x9999999a, v6, vcc_lo
	s_delay_alu instid0(VALU_DEP_1) | instskip(NEXT) | instid1(VALU_DEP_1)
	v_div_scale_f64 v[14:15], null, v[12:13], v[12:13], -1.0
	v_rcp_f64_e32 v[20:21], v[14:15]
	v_nop
	s_delay_alu instid0(TRANS32_DEP_1) | instskip(NEXT) | instid1(VALU_DEP_1)
	v_fma_f64 v[26:27], -v[14:15], v[20:21], 1.0
	v_fmac_f64_e32 v[20:21], v[20:21], v[26:27]
	s_delay_alu instid0(VALU_DEP_1) | instskip(NEXT) | instid1(VALU_DEP_1)
	v_fma_f64 v[26:27], -v[14:15], v[20:21], 1.0
	v_fmac_f64_e32 v[20:21], v[20:21], v[26:27]
	s_wait_loadcnt 0x0
	v_add_f64_e64 v[8:9], v[8:9], -v[10:11]
	s_delay_alu instid0(VALU_DEP_1) | instskip(SKIP_1) | instid1(VALU_DEP_2)
	v_div_scale_f64 v[6:7], null, v[12:13], v[12:13], v[8:9]
	v_div_scale_f64 v[28:29], vcc_lo, v[8:9], v[12:13], v[8:9]
	v_rcp_f64_e32 v[16:17], v[6:7]
	v_nop
	s_delay_alu instid0(TRANS32_DEP_1) | instskip(NEXT) | instid1(VALU_DEP_1)
	v_fma_f64 v[24:25], -v[6:7], v[16:17], 1.0
	v_fmac_f64_e32 v[16:17], v[16:17], v[24:25]
	s_delay_alu instid0(VALU_DEP_1) | instskip(NEXT) | instid1(VALU_DEP_1)
	v_fma_f64 v[24:25], -v[6:7], v[16:17], 1.0
	v_fmac_f64_e32 v[16:17], v[16:17], v[24:25]
	v_div_scale_f64 v[24:25], s0, -1.0, v[12:13], -1.0
	s_delay_alu instid0(VALU_DEP_2) | instskip(NEXT) | instid1(VALU_DEP_2)
	v_mul_f64_e32 v[26:27], v[28:29], v[16:17]
	v_mul_f64_e32 v[32:33], v[24:25], v[20:21]
	s_delay_alu instid0(VALU_DEP_2) | instskip(NEXT) | instid1(VALU_DEP_2)
	v_fma_f64 v[6:7], -v[6:7], v[26:27], v[28:29]
	v_fma_f64 v[14:15], -v[14:15], v[32:33], v[24:25]
	s_delay_alu instid0(VALU_DEP_2) | instskip(SKIP_2) | instid1(VALU_DEP_2)
	v_div_fmas_f64 v[16:17], v[6:7], v[16:17], v[26:27]
	s_mov_b32 vcc_lo, s0
	s_mov_b64 s[0:1], 0x3e45798ee2308c3a
	v_div_fmas_f64 v[6:7], v[14:15], v[20:21], v[32:33]
	s_delay_alu instid0(VALU_DEP_2) | instskip(NEXT) | instid1(VALU_DEP_2)
	v_div_fixup_f64 v[8:9], v[16:17], v[12:13], v[8:9]
	v_div_fixup_f64 v[6:7], v[6:7], v[12:13], -1.0
	s_delay_alu instid0(VALU_DEP_1) | instskip(SKIP_2) | instid1(SALU_CYCLE_1)
	v_cmp_ngt_f64_e64 s0, |v[6:7]|, s[0:1]
	s_wait_xcnt 0x0
	s_and_saveexec_b32 s1, s0
	s_xor_b32 s0, exec_lo, s1
; %bb.54:
	v_mul_f64_e32 v[4:5], s[12:13], v[8:9]
                                        ; implicit-def: $vgpr6_vgpr7
                                        ; implicit-def: $vgpr8_vgpr9
; %bb.55:
	s_or_saveexec_b32 s1, s0
	v_ashrrev_i32_e32 v125, 31, v124
	v_lshl_add_u64 v[2:3], v[98:99], 3, s[8:9]
	s_xor_b32 exec_lo, exec_lo, s1
	s_cbranch_execz .LBB0_57
; %bb.56:
	v_mul_f64_e32 v[4:5], s[12:13], v[6:7]
	s_mov_b64 s[2:3], 0x3e5ade156a5dcb37
	s_delay_alu instid0(VALU_DEP_1) | instskip(SKIP_2) | instid1(VALU_DEP_3)
	v_mul_f64_e32 v[12:13], 0x3ff71547652b82fe, v[4:5]
	v_cmp_nlt_f64_e32 vcc_lo, 0x40900000, v[4:5]
	v_cmp_ngt_f64_e64 s0, 0xc090cc00, v[4:5]
	v_rndne_f64_e32 v[12:13], v[12:13]
	s_delay_alu instid0(VALU_DEP_1) | instskip(SKIP_1) | instid1(VALU_DEP_2)
	v_fmamk_f64 v[14:15], v[12:13], 0xbfe62e42fefa39ef, v[4:5]
	v_cvt_i32_f64_e32 v10, v[12:13]
	v_fmamk_f64 v[14:15], v[12:13], 0xbc7abc9e3b39803f, v[14:15]
	s_delay_alu instid0(VALU_DEP_1) | instskip(NEXT) | instid1(VALU_DEP_1)
	v_fmaak_f64 v[16:17], s[2:3], v[14:15], 0x3e928af3fca7ab0c
	v_fmaak_f64 v[16:17], v[14:15], v[16:17], 0x3ec71dee623fde64
	s_delay_alu instid0(VALU_DEP_1) | instskip(NEXT) | instid1(VALU_DEP_1)
	v_fmaak_f64 v[16:17], v[14:15], v[16:17], 0x3efa01997c89e6b0
	v_fmaak_f64 v[16:17], v[14:15], v[16:17], 0x3f2a01a014761f6e
	;; [unrolled: 3-line block ×4, first 2 shown]
	s_delay_alu instid0(VALU_DEP_1) | instskip(NEXT) | instid1(VALU_DEP_1)
	v_fmaak_f64 v[16:17], v[14:15], v[16:17], 0x3fe000000000000b
	v_fma_f64 v[16:17], v[14:15], v[16:17], 1.0
	s_delay_alu instid0(VALU_DEP_1) | instskip(NEXT) | instid1(VALU_DEP_1)
	v_fma_f64 v[12:13], v[14:15], v[16:17], 1.0
	v_ldexp_f64 v[12:13], v[12:13], v10
	s_delay_alu instid0(VALU_DEP_1) | instskip(NEXT) | instid1(VALU_DEP_1)
	v_add_f64_e32 v[12:13], -1.0, v[12:13]
	v_cndmask_b32_e32 v10, 0x7ff00000, v13, vcc_lo
	s_and_b32 vcc_lo, s0, vcc_lo
	s_delay_alu instid0(VALU_DEP_2) | instskip(NEXT) | instid1(VALU_DEP_2)
	v_cndmask_b32_e32 v4, 0, v12, vcc_lo
	v_cndmask_b32_e64 v5, 0xbff00000, v10, s0
	s_delay_alu instid0(VALU_DEP_1) | instskip(NEXT) | instid1(VALU_DEP_1)
	v_mul_f64_e32 v[4:5], v[8:9], v[4:5]
	v_div_scale_f64 v[8:9], null, v[6:7], v[6:7], v[4:5]
	s_delay_alu instid0(VALU_DEP_1) | instskip(SKIP_1) | instid1(TRANS32_DEP_1)
	v_rcp_f64_e32 v[12:13], v[8:9]
	v_nop
	v_fma_f64 v[14:15], -v[8:9], v[12:13], 1.0
	s_delay_alu instid0(VALU_DEP_1) | instskip(NEXT) | instid1(VALU_DEP_1)
	v_fmac_f64_e32 v[12:13], v[12:13], v[14:15]
	v_fma_f64 v[14:15], -v[8:9], v[12:13], 1.0
	s_delay_alu instid0(VALU_DEP_1) | instskip(SKIP_1) | instid1(VALU_DEP_1)
	v_fmac_f64_e32 v[12:13], v[12:13], v[14:15]
	v_div_scale_f64 v[14:15], vcc_lo, v[4:5], v[6:7], v[4:5]
	v_mul_f64_e32 v[16:17], v[14:15], v[12:13]
	s_delay_alu instid0(VALU_DEP_1) | instskip(NEXT) | instid1(VALU_DEP_1)
	v_fma_f64 v[8:9], -v[8:9], v[16:17], v[14:15]
	v_div_fmas_f64 v[8:9], v[8:9], v[12:13], v[16:17]
	s_delay_alu instid0(VALU_DEP_1)
	v_div_fixup_f64 v[4:5], v[8:9], v[6:7], v[4:5]
.LBB0_57:
	s_or_b32 exec_lo, exec_lo, s1
	s_clause 0x4
	scratch_load_b64 v[6:7], off, off offset:88
	scratch_load_b64 v[8:9], off, off offset:96
	;; [unrolled: 1-line block ×5, first 2 shown]
	s_mov_b64 s[0:1], 0x3fe5555555555555
	v_mov_b64_e32 v[38:39], 0x3e928af3fca7ab0c
	v_mov_b64_e32 v[32:33], 0x3ec71dee623fde64
	v_add_f64_e32 v[28:29], v[18:19], v[18:19]
	scratch_load_b64 v[72:73], off, off offset:136 ; 8-byte Folded Reload
	s_wait_loadcnt 0x4
	v_mul_f64_e32 v[98:99], v[6:7], v[8:9]
	v_mul_f64_e32 v[6:7], 0.5, v[6:7]
	s_delay_alu instid0(VALU_DEP_1) | instskip(SKIP_2) | instid1(VALU_DEP_1)
	v_mul_f64_e32 v[54:55], v[6:7], v[8:9]
	s_wait_loadcnt 0x3
	v_div_scale_f64 v[6:7], null, v[36:37], v[36:37], v[40:41]
	v_rcp_f64_e32 v[8:9], v[6:7]
	v_nop
	s_delay_alu instid0(TRANS32_DEP_1) | instskip(NEXT) | instid1(VALU_DEP_1)
	v_fma_f64 v[12:13], -v[6:7], v[8:9], 1.0
	v_fmac_f64_e32 v[8:9], v[8:9], v[12:13]
	s_delay_alu instid0(VALU_DEP_1) | instskip(NEXT) | instid1(VALU_DEP_1)
	v_fma_f64 v[12:13], -v[6:7], v[8:9], 1.0
	v_fmac_f64_e32 v[8:9], v[8:9], v[12:13]
	v_div_scale_f64 v[12:13], vcc_lo, v[40:41], v[36:37], v[40:41]
	s_delay_alu instid0(VALU_DEP_1) | instskip(NEXT) | instid1(VALU_DEP_1)
	v_mul_f64_e32 v[14:15], v[12:13], v[8:9]
	v_fma_f64 v[6:7], -v[6:7], v[14:15], v[12:13]
	s_delay_alu instid0(VALU_DEP_1) | instskip(NEXT) | instid1(VALU_DEP_1)
	v_div_fmas_f64 v[6:7], v[6:7], v[8:9], v[14:15]
	v_div_fixup_f64 v[6:7], v[6:7], v[36:37], v[40:41]
	s_delay_alu instid0(VALU_DEP_1) | instskip(SKIP_1) | instid1(VALU_DEP_2)
	v_frexp_mant_f64_e32 v[8:9], v[6:7]
	v_frexp_exp_i32_f64_e32 v10, v[6:7]
	v_cmp_gt_f64_e32 vcc_lo, s[0:1], v[8:9]
	s_mov_b64 s[0:1], 0x3fc3ab76bf559e2b
	v_cndmask_b32_e64 v11, 0, 1, vcc_lo
	s_delay_alu instid0(VALU_DEP_3) | instskip(SKIP_1) | instid1(VALU_DEP_3)
	v_subrev_co_ci_u32_e64 v10, null, 0, v10, vcc_lo
	v_cmp_class_f64_e64 vcc_lo, v[6:7], 0x204
	v_ldexp_f64 v[8:9], v[8:9], v11
	s_delay_alu instid0(VALU_DEP_1) | instskip(SKIP_1) | instid1(VALU_DEP_2)
	v_add_f64_e32 v[14:15], 1.0, v[8:9]
	v_add_f64_e32 v[12:13], -1.0, v[8:9]
	v_add_f64_e32 v[16:17], -1.0, v[14:15]
	s_delay_alu instid0(VALU_DEP_1) | instskip(SKIP_2) | instid1(TRANS32_DEP_1)
	v_add_f64_e64 v[8:9], v[8:9], -v[16:17]
	v_rcp_f64_e32 v[16:17], v[14:15]
	v_nop
	v_fma_f64 v[20:21], -v[14:15], v[16:17], 1.0
	s_delay_alu instid0(VALU_DEP_1) | instskip(NEXT) | instid1(VALU_DEP_1)
	v_fmac_f64_e32 v[16:17], v[20:21], v[16:17]
	v_fma_f64 v[20:21], -v[14:15], v[16:17], 1.0
	s_delay_alu instid0(VALU_DEP_1) | instskip(NEXT) | instid1(VALU_DEP_1)
	v_fmac_f64_e32 v[16:17], v[20:21], v[16:17]
	v_mul_f64_e32 v[20:21], v[12:13], v[16:17]
	s_delay_alu instid0(VALU_DEP_1) | instskip(NEXT) | instid1(VALU_DEP_1)
	v_mul_f64_e32 v[24:25], v[14:15], v[20:21]
	v_fma_f64 v[14:15], v[20:21], v[14:15], -v[24:25]
	s_delay_alu instid0(VALU_DEP_1) | instskip(NEXT) | instid1(VALU_DEP_1)
	v_fmac_f64_e32 v[14:15], v[20:21], v[8:9]
	v_add_f64_e32 v[8:9], v[24:25], v[14:15]
	s_delay_alu instid0(VALU_DEP_1) | instskip(SKIP_1) | instid1(VALU_DEP_2)
	v_add_f64_e64 v[26:27], v[12:13], -v[8:9]
	v_add_f64_e64 v[24:25], v[8:9], -v[24:25]
	;; [unrolled: 1-line block ×3, first 2 shown]
	s_delay_alu instid0(VALU_DEP_1) | instskip(NEXT) | instid1(VALU_DEP_3)
	v_add_f64_e64 v[8:9], v[12:13], -v[8:9]
	v_add_f64_e64 v[12:13], v[24:25], -v[14:15]
	s_delay_alu instid0(VALU_DEP_1) | instskip(NEXT) | instid1(VALU_DEP_1)
	v_add_f64_e32 v[8:9], v[12:13], v[8:9]
	v_add_f64_e32 v[8:9], v[26:27], v[8:9]
	s_delay_alu instid0(VALU_DEP_1) | instskip(NEXT) | instid1(VALU_DEP_1)
	v_mul_f64_e32 v[8:9], v[16:17], v[8:9]
	v_add_f64_e32 v[12:13], v[20:21], v[8:9]
	s_delay_alu instid0(VALU_DEP_1) | instskip(SKIP_1) | instid1(VALU_DEP_2)
	v_add_f64_e64 v[14:15], v[12:13], -v[20:21]
	v_ldexp_f64 v[20:21], v[12:13], 1
	v_add_f64_e64 v[8:9], v[8:9], -v[14:15]
	v_mul_f64_e32 v[14:15], v[12:13], v[12:13]
	s_delay_alu instid0(VALU_DEP_2) | instskip(NEXT) | instid1(VALU_DEP_2)
	v_ldexp_f64 v[8:9], v[8:9], 1
	v_fmaak_f64 v[16:17], s[0:1], v[14:15], 0x3fc385386b47b09a
	v_mul_f64_e32 v[12:13], v[12:13], v[14:15]
	s_mov_b64 s[0:1], 0x3fe62e42fefa39ef
	s_delay_alu instid0(VALU_DEP_2) | instskip(NEXT) | instid1(VALU_DEP_1)
	v_fmaak_f64 v[16:17], v[14:15], v[16:17], 0x3fc7474dd7f4df2e
	v_fmaak_f64 v[16:17], v[14:15], v[16:17], 0x3fcc71c016291751
	s_delay_alu instid0(VALU_DEP_1) | instskip(NEXT) | instid1(VALU_DEP_1)
	v_fmaak_f64 v[16:17], v[14:15], v[16:17], 0x3fd249249b27acf1
	v_fmaak_f64 v[16:17], v[14:15], v[16:17], 0x3fd99999998ef7b6
	s_delay_alu instid0(VALU_DEP_1) | instskip(NEXT) | instid1(VALU_DEP_1)
	v_fmaak_f64 v[16:17], v[14:15], v[16:17], 0x3fe5555555555780
	v_mul_f64_e32 v[12:13], v[12:13], v[16:17]
	s_delay_alu instid0(VALU_DEP_1) | instskip(NEXT) | instid1(VALU_DEP_1)
	v_add_f64_e32 v[14:15], v[20:21], v[12:13]
	v_add_f64_e64 v[16:17], v[14:15], -v[20:21]
	s_delay_alu instid0(VALU_DEP_1) | instskip(NEXT) | instid1(VALU_DEP_1)
	v_add_f64_e64 v[12:13], v[12:13], -v[16:17]
	v_add_f64_e32 v[8:9], v[8:9], v[12:13]
	s_delay_alu instid0(VALU_DEP_1) | instskip(NEXT) | instid1(VALU_DEP_1)
	v_add_f64_e32 v[12:13], v[14:15], v[8:9]
	v_add_f64_e64 v[14:15], v[12:13], -v[14:15]
	s_delay_alu instid0(VALU_DEP_1) | instskip(SKIP_1) | instid1(VALU_DEP_1)
	v_add_f64_e64 v[8:9], v[8:9], -v[14:15]
	v_cvt_f64_i32_e32 v[14:15], v10
	v_mul_f64_e32 v[16:17], 0x3fe62e42fefa39ef, v[14:15]
	s_delay_alu instid0(VALU_DEP_1) | instskip(NEXT) | instid1(VALU_DEP_1)
	v_fma_f64 v[20:21], v[14:15], s[0:1], -v[16:17]
	v_fmamk_f64 v[14:15], v[14:15], 0x3c7abc9e3b39803f, v[20:21]
	s_delay_alu instid0(VALU_DEP_1) | instskip(NEXT) | instid1(VALU_DEP_1)
	v_add_f64_e32 v[20:21], v[16:17], v[14:15]
	v_add_f64_e64 v[16:17], v[20:21], -v[16:17]
	s_delay_alu instid0(VALU_DEP_1) | instskip(SKIP_1) | instid1(VALU_DEP_1)
	v_add_f64_e64 v[14:15], v[14:15], -v[16:17]
	v_add_f64_e32 v[16:17], v[20:21], v[12:13]
	v_add_f64_e64 v[24:25], v[16:17], -v[20:21]
	s_delay_alu instid0(VALU_DEP_1) | instskip(SKIP_1) | instid1(VALU_DEP_2)
	v_add_f64_e64 v[26:27], v[16:17], -v[24:25]
	v_add_f64_e64 v[12:13], v[12:13], -v[24:25]
	;; [unrolled: 1-line block ×3, first 2 shown]
	s_delay_alu instid0(VALU_DEP_1) | instskip(SKIP_1) | instid1(VALU_DEP_1)
	v_add_f64_e32 v[12:13], v[12:13], v[20:21]
	v_add_f64_e32 v[20:21], v[14:15], v[8:9]
	v_add_f64_e64 v[24:25], v[20:21], -v[14:15]
	s_delay_alu instid0(VALU_DEP_3) | instskip(NEXT) | instid1(VALU_DEP_2)
	v_add_f64_e32 v[12:13], v[20:21], v[12:13]
	v_add_f64_e64 v[26:27], v[20:21], -v[24:25]
	v_add_f64_e64 v[8:9], v[8:9], -v[24:25]
	v_mov_b64_e32 v[24:25], 0x3f2a01a014761f6e
	v_mov_b64_e32 v[20:21], 0x3f56c16c1852b7b0
	s_delay_alu instid0(VALU_DEP_4) | instskip(SKIP_1) | instid1(VALU_DEP_2)
	v_add_f64_e64 v[14:15], v[14:15], -v[26:27]
	v_mov_b64_e32 v[26:27], 0x3efa01997c89e6b0
	v_add_f64_e32 v[8:9], v[8:9], v[14:15]
	v_add_f64_e32 v[14:15], v[16:17], v[12:13]
	s_delay_alu instid0(VALU_DEP_1) | instskip(NEXT) | instid1(VALU_DEP_1)
	v_add_f64_e64 v[16:17], v[14:15], -v[16:17]
	v_add_f64_e64 v[12:13], v[12:13], -v[16:17]
	s_delay_alu instid0(VALU_DEP_1) | instskip(NEXT) | instid1(VALU_DEP_1)
	v_add_f64_e32 v[8:9], v[8:9], v[12:13]
	v_add_f64_e32 v[8:9], v[14:15], v[8:9]
	s_delay_alu instid0(VALU_DEP_1) | instskip(SKIP_1) | instid1(VALU_DEP_2)
	v_dual_cndmask_b32 v8, v8, v6, vcc_lo :: v_dual_cndmask_b32 v9, -v9, -v7, vcc_lo
	v_cmp_ngt_f64_e32 vcc_lo, 0, v[6:7]
	v_cndmask_b32_e32 v9, 0xfff80000, v9, vcc_lo
	v_cmp_nge_f64_e32 vcc_lo, 0, v[6:7]
	s_delay_alu instid0(VALU_DEP_4) | instskip(SKIP_1) | instid1(VALU_DEP_4)
	v_cndmask_b32_e32 v8, 0, v8, vcc_lo
	v_cmp_neq_f64_e32 vcc_lo, 0, v[6:7]
	v_cndmask_b32_e32 v9, 0x7ff00000, v9, vcc_lo
	s_delay_alu instid0(VALU_DEP_1) | instskip(NEXT) | instid1(VALU_DEP_1)
	v_mul_f64_e32 v[6:7], v[54:55], v[8:9]
	v_div_scale_f64 v[8:9], null, v[18:19], v[18:19], v[6:7]
	s_delay_alu instid0(VALU_DEP_1) | instskip(SKIP_1) | instid1(TRANS32_DEP_1)
	v_rcp_f64_e32 v[12:13], v[8:9]
	v_nop
	v_fma_f64 v[14:15], -v[8:9], v[12:13], 1.0
	s_delay_alu instid0(VALU_DEP_1) | instskip(NEXT) | instid1(VALU_DEP_1)
	v_fmac_f64_e32 v[12:13], v[12:13], v[14:15]
	v_fma_f64 v[14:15], -v[8:9], v[12:13], 1.0
	s_delay_alu instid0(VALU_DEP_1) | instskip(SKIP_1) | instid1(VALU_DEP_1)
	v_fmac_f64_e32 v[12:13], v[12:13], v[14:15]
	v_div_scale_f64 v[14:15], vcc_lo, v[6:7], v[18:19], v[6:7]
	v_mul_f64_e32 v[16:17], v[14:15], v[12:13]
	s_delay_alu instid0(VALU_DEP_1) | instskip(NEXT) | instid1(VALU_DEP_1)
	v_fma_f64 v[8:9], -v[8:9], v[16:17], v[14:15]
	v_div_fmas_f64 v[8:9], v[8:9], v[12:13], v[16:17]
	s_delay_alu instid0(VALU_DEP_1) | instskip(NEXT) | instid1(VALU_DEP_1)
	v_div_fixup_f64 v[6:7], v[8:9], v[18:19], v[6:7]
	v_add_f64_e32 v[6:7], v[0:1], v[6:7]
	s_wait_loadcnt 0x2
	s_delay_alu instid0(VALU_DEP_1)
	v_mul_f64_e32 v[106:107], v[108:109], v[6:7]
	scratch_load_b64 v[6:7], off, off offset:80 ; 8-byte Folded Reload
	s_wait_loadcnt 0x0
	v_add_f64_e32 v[4:5], v[6:7], v[4:5]
	global_store_b64 v[2:3], v[4:5], off
	scratch_load_b64 v[2:3], off, off offset:72 ; 8-byte Folded Reload
	s_wait_loadcnt 0x0
	v_mul_f64_e32 v[4:5], v[2:3], v[2:3]
	s_delay_alu instid0(VALU_DEP_1) | instskip(SKIP_2) | instid1(VALU_DEP_1)
	v_mov_b64_e32 v[52:53], v[4:5]
	v_mul_f64_e32 v[2:3], v[2:3], v[4:5]
	v_mul_f64_e32 v[4:5], v[46:47], v[18:19]
	v_mul_f64_e32 v[4:5], v[0:1], v[4:5]
	s_delay_alu instid0(VALU_DEP_1) | instskip(NEXT) | instid1(VALU_DEP_1)
	v_div_scale_f64 v[6:7], null, v[98:99], v[98:99], v[4:5]
	v_rcp_f64_e32 v[8:9], v[6:7]
	v_nop
	s_delay_alu instid0(TRANS32_DEP_1) | instskip(NEXT) | instid1(VALU_DEP_1)
	v_fma_f64 v[12:13], -v[6:7], v[8:9], 1.0
	v_fmac_f64_e32 v[8:9], v[8:9], v[12:13]
	s_delay_alu instid0(VALU_DEP_1) | instskip(NEXT) | instid1(VALU_DEP_1)
	v_fma_f64 v[12:13], -v[6:7], v[8:9], 1.0
	v_fmac_f64_e32 v[8:9], v[8:9], v[12:13]
	v_div_scale_f64 v[12:13], vcc_lo, v[4:5], v[98:99], v[4:5]
	s_delay_alu instid0(VALU_DEP_1) | instskip(NEXT) | instid1(VALU_DEP_1)
	v_mul_f64_e32 v[14:15], v[12:13], v[8:9]
	v_fma_f64 v[6:7], -v[6:7], v[14:15], v[12:13]
	v_mov_b64_e32 v[12:13], 0x3fa55555555502a1
	s_delay_alu instid0(VALU_DEP_2) | instskip(SKIP_2) | instid1(VALU_DEP_3)
	v_div_fmas_f64 v[6:7], v[6:7], v[8:9], v[14:15]
	v_mov_b64_e32 v[14:15], 0x3f81111111122322
	v_mov_b64_e32 v[8:9], 0x3fc5555555555511
	v_div_fixup_f64 v[4:5], v[6:7], v[98:99], v[4:5]
	s_delay_alu instid0(VALU_DEP_1) | instskip(SKIP_2) | instid1(VALU_DEP_3)
	v_mul_f64_e32 v[6:7], 0x3ff71547652b82fe, v[4:5]
	v_cmp_nlt_f64_e32 vcc_lo, 0x40900000, v[4:5]
	v_cmp_ngt_f64_e64 s0, 0xc090cc00, v[4:5]
	v_rndne_f64_e32 v[16:17], v[6:7]
	s_delay_alu instid0(VALU_DEP_1) | instskip(SKIP_2) | instid1(VALU_DEP_3)
	v_fmamk_f64 v[42:43], v[16:17], 0xbfe62e42fefa39ef, v[4:5]
	v_cvt_i32_f64_e32 v10, v[16:17]
	v_mul_f64_e32 v[4:5], v[80:81], v[80:81]
	v_fmac_f64_e32 v[42:43], 0xbc7abc9e3b39803f, v[16:17]
	s_delay_alu instid0(VALU_DEP_2) | instskip(NEXT) | instid1(VALU_DEP_2)
	v_mul_f64_e32 v[96:97], v[80:81], v[4:5]
	v_fmamk_f64 v[6:7], v[42:43], 0x3e5ade156a5dcb37, v[38:39]
	s_delay_alu instid0(VALU_DEP_1) | instskip(NEXT) | instid1(VALU_DEP_1)
	v_fmaak_f64 v[6:7], v[42:43], v[6:7], 0x3ec71dee623fde64
	v_fmaak_f64 v[6:7], v[42:43], v[6:7], 0x3efa01997c89e6b0
	s_delay_alu instid0(VALU_DEP_1) | instskip(SKIP_1) | instid1(VALU_DEP_2)
	v_fmaak_f64 v[6:7], v[42:43], v[6:7], 0x3f2a01a014761f6e
	v_mul_f64_e32 v[4:5], v[72:73], v[96:97]
	v_fmaak_f64 v[6:7], v[42:43], v[6:7], 0x3f56c16c1852b7b0
	s_delay_alu instid0(VALU_DEP_1) | instskip(NEXT) | instid1(VALU_DEP_1)
	v_fmaak_f64 v[6:7], v[42:43], v[6:7], 0x3f81111111122322
	v_fmaak_f64 v[6:7], v[42:43], v[6:7], 0x3fa55555555502a1
	s_delay_alu instid0(VALU_DEP_1) | instskip(SKIP_1) | instid1(VALU_DEP_2)
	v_fmaak_f64 v[44:45], v[42:43], v[6:7], 0x3fc5555555555511
	v_mov_b64_e32 v[6:7], 0x3fe000000000000b
	v_fmaak_f64 v[44:45], v[42:43], v[44:45], 0x3fe000000000000b
	v_mul_f64_e32 v[4:5], v[36:37], v[4:5]
	s_delay_alu instid0(VALU_DEP_2) | instskip(NEXT) | instid1(VALU_DEP_1)
	v_fma_f64 v[44:45], v[42:43], v[44:45], 1.0
	v_fma_f64 v[42:43], v[42:43], v[44:45], 1.0
	s_delay_alu instid0(VALU_DEP_1) | instskip(NEXT) | instid1(VALU_DEP_1)
	v_ldexp_f64 v[16:17], v[42:43], v10
	v_cndmask_b32_e32 v10, 0x7ff00000, v17, vcc_lo
	s_and_b32 vcc_lo, s0, vcc_lo
	s_delay_alu instid0(VALU_DEP_2)
	v_cndmask_b32_e32 v120, 0, v16, vcc_lo
	scratch_load_b64 v[16:17], off, off offset:64 ; 8-byte Folded Reload
	v_cndmask_b32_e64 v121, 0, v10, s0
	v_add_f64_e32 v[10:11], -1.0, v[46:47]
	scratch_store_b64 off, v[2:3], off offset:392 ; 8-byte Folded Spill
	s_wait_xcnt 0x0
	v_mul_f64_e32 v[2:3], v[2:3], v[40:41]
	v_mul_f64_e32 v[42:43], v[10:11], v[18:19]
	s_delay_alu instid0(VALU_DEP_1) | instskip(NEXT) | instid1(VALU_DEP_1)
	v_mul_f64_e32 v[42:43], v[0:1], v[42:43]
	v_div_scale_f64 v[44:45], null, v[98:99], v[98:99], v[42:43]
	s_delay_alu instid0(VALU_DEP_1) | instskip(SKIP_1) | instid1(TRANS32_DEP_1)
	v_rcp_f64_e32 v[46:47], v[44:45]
	v_nop
	v_fma_f64 v[58:59], -v[44:45], v[46:47], 1.0
	s_delay_alu instid0(VALU_DEP_1) | instskip(NEXT) | instid1(VALU_DEP_1)
	v_fmac_f64_e32 v[46:47], v[46:47], v[58:59]
	v_fma_f64 v[58:59], -v[44:45], v[46:47], 1.0
	s_delay_alu instid0(VALU_DEP_1) | instskip(SKIP_1) | instid1(VALU_DEP_1)
	v_fmac_f64_e32 v[46:47], v[46:47], v[58:59]
	v_div_scale_f64 v[58:59], vcc_lo, v[42:43], v[98:99], v[42:43]
	v_mul_f64_e32 v[60:61], v[58:59], v[46:47]
	s_delay_alu instid0(VALU_DEP_1) | instskip(NEXT) | instid1(VALU_DEP_1)
	v_fma_f64 v[44:45], -v[44:45], v[60:61], v[58:59]
	v_div_fmas_f64 v[44:45], v[44:45], v[46:47], v[60:61]
	v_add_f64_e32 v[60:61], v[36:37], v[62:63]
	s_delay_alu instid0(VALU_DEP_2) | instskip(NEXT) | instid1(VALU_DEP_2)
	v_div_fixup_f64 v[42:43], v[44:45], v[98:99], v[42:43]
	v_mul_f64_e32 v[66:67], v[60:61], v[60:61]
	s_delay_alu instid0(VALU_DEP_2) | instskip(SKIP_2) | instid1(VALU_DEP_4)
	v_mul_f64_e32 v[44:45], 0x3ff71547652b82fe, v[42:43]
	v_cmp_nlt_f64_e32 vcc_lo, 0x40900000, v[42:43]
	v_cmp_ngt_f64_e64 s0, 0xc090cc00, v[42:43]
	v_mul_f64_e32 v[60:61], v[60:61], v[66:67]
	s_delay_alu instid0(VALU_DEP_4) | instskip(NEXT) | instid1(VALU_DEP_1)
	v_rndne_f64_e32 v[44:45], v[44:45]
	v_fmamk_f64 v[46:47], v[44:45], 0xbfe62e42fefa39ef, v[42:43]
	s_delay_alu instid0(VALU_DEP_1) | instskip(NEXT) | instid1(VALU_DEP_1)
	v_fmac_f64_e32 v[46:47], 0xbc7abc9e3b39803f, v[44:45]
	v_fmac_f64_e32 v[38:39], 0x3e5ade156a5dcb37, v[46:47]
	s_delay_alu instid0(VALU_DEP_1) | instskip(NEXT) | instid1(VALU_DEP_1)
	v_fmac_f64_e32 v[32:33], v[46:47], v[38:39]
	v_fmac_f64_e32 v[26:27], v[46:47], v[32:33]
	;; [unrolled: 3-line block ×5, first 2 shown]
	v_cvt_i32_f64_e32 v8, v[44:45]
	v_add_f64_e64 v[44:45], v[56:57], -v[36:37]
	s_delay_alu instid0(VALU_DEP_3) | instskip(NEXT) | instid1(VALU_DEP_1)
	v_fma_f64 v[6:7], v[46:47], v[6:7], 1.0
	v_fma_f64 v[6:7], v[46:47], v[6:7], 1.0
	s_delay_alu instid0(VALU_DEP_1) | instskip(NEXT) | instid1(VALU_DEP_1)
	v_ldexp_f64 v[6:7], v[6:7], v8
	v_cndmask_b32_e32 v7, 0x7ff00000, v7, vcc_lo
	s_and_b32 vcc_lo, s0, vcc_lo
	s_delay_alu instid0(VALU_DEP_1) | instid1(SALU_CYCLE_1)
	v_dual_cndmask_b32 v26, 0, v6, vcc_lo :: v_dual_cndmask_b32 v27, 0, v7, s0
	s_mov_b64 s[0:1], 0x3e45798ee2308c3a
	s_delay_alu instid0(VALU_DEP_1) | instskip(NEXT) | instid1(VALU_DEP_1)
	v_mul_f64_e32 v[4:5], v[4:5], v[26:27]
	v_fma_f64 v[2:3], v[2:3], v[120:121], -v[4:5]
	s_clause 0x2
	scratch_load_b64 v[4:5], off, off offset:128
	scratch_store_b64 off, v[10:11], off offset:400
	scratch_store_b64 off, v[2:3], off offset:408
	s_wait_loadcnt 0x1
	s_wait_xcnt 0x0
	v_mul_f64_e32 v[2:3], v[16:17], v[2:3]
	s_wait_loadcnt 0x0
	v_fma_f64 v[6:7], v[4:5], v[26:27], 1.0
	scratch_load_b64 v[4:5], off, off offset:384 th:TH_LOAD_LU ; 8-byte Folded Reload
	s_wait_loadcnt 0x0
	v_add_f64_e32 v[4:5], v[4:5], v[40:41]
	s_clause 0x1
	scratch_store_b64 off, v[6:7], off offset:384
	scratch_store_b64 off, v[4:5], off offset:416
	s_wait_xcnt 0x0
	v_mul_f64_e32 v[4:5], v[4:5], v[6:7]
	v_mul_f64_e32 v[6:7], v[88:89], v[88:89]
	s_clause 0x1
	scratch_load_b64 v[40:41], off, off offset:360 th:TH_LOAD_LU
	scratch_store_b64 off, v[96:97], off offset:360
	v_fma_f64 v[6:7], v[88:89], v[6:7], v[96:97]
	s_delay_alu instid0(VALU_DEP_1) | instskip(SKIP_3) | instid1(VALU_DEP_1)
	v_mul_f64_e32 v[64:65], v[6:7], v[4:5]
	scratch_store_b64 off, v[6:7], off offset:424 ; 8-byte Folded Spill
	v_div_scale_f64 v[4:5], null, v[64:65], v[64:65], v[2:3]
	s_wait_xcnt 0x0
	v_rcp_f64_e32 v[6:7], v[4:5]
	v_nop
	s_delay_alu instid0(TRANS32_DEP_1) | instskip(NEXT) | instid1(VALU_DEP_1)
	v_fma_f64 v[8:9], -v[4:5], v[6:7], 1.0
	v_fmac_f64_e32 v[6:7], v[6:7], v[8:9]
	s_delay_alu instid0(VALU_DEP_1) | instskip(NEXT) | instid1(VALU_DEP_1)
	v_fma_f64 v[8:9], -v[4:5], v[6:7], 1.0
	v_fmac_f64_e32 v[6:7], v[6:7], v[8:9]
	v_div_scale_f64 v[8:9], vcc_lo, v[2:3], v[64:65], v[2:3]
	s_delay_alu instid0(VALU_DEP_1) | instskip(NEXT) | instid1(VALU_DEP_1)
	v_mul_f64_e32 v[12:13], v[8:9], v[6:7]
	v_fma_f64 v[4:5], -v[4:5], v[12:13], v[8:9]
	s_delay_alu instid0(VALU_DEP_1) | instskip(NEXT) | instid1(VALU_DEP_1)
	v_div_fmas_f64 v[4:5], v[4:5], v[6:7], v[12:13]
	v_div_fixup_f64 v[24:25], v[4:5], v[64:65], v[2:3]
	scratch_load_b64 v[2:3], off, off offset:376 th:TH_LOAD_LU ; 8-byte Folded Reload
	v_mul_f64_e32 v[4:5], v[36:37], v[22:23]
	s_wait_loadcnt 0x0
	v_add_f64_e32 v[6:7], v[36:37], v[2:3]
	s_delay_alu instid0(VALU_DEP_1) | instskip(NEXT) | instid1(VALU_DEP_1)
	v_div_scale_f64 v[2:3], null, v[6:7], v[6:7], v[4:5]
	v_rcp_f64_e32 v[8:9], v[2:3]
	v_nop
	s_delay_alu instid0(TRANS32_DEP_1) | instskip(NEXT) | instid1(VALU_DEP_1)
	v_fma_f64 v[12:13], -v[2:3], v[8:9], 1.0
	v_fmac_f64_e32 v[8:9], v[8:9], v[12:13]
	s_delay_alu instid0(VALU_DEP_1) | instskip(NEXT) | instid1(VALU_DEP_1)
	v_fma_f64 v[12:13], -v[2:3], v[8:9], 1.0
	v_fmac_f64_e32 v[8:9], v[8:9], v[12:13]
	v_div_scale_f64 v[12:13], vcc_lo, v[4:5], v[6:7], v[4:5]
	s_delay_alu instid0(VALU_DEP_1) | instskip(NEXT) | instid1(VALU_DEP_1)
	v_mul_f64_e32 v[14:15], v[12:13], v[8:9]
	v_fma_f64 v[2:3], -v[2:3], v[14:15], v[12:13]
	v_mul_f64_e32 v[12:13], v[36:37], v[36:37]
	s_delay_alu instid0(VALU_DEP_2) | instskip(NEXT) | instid1(VALU_DEP_1)
	v_div_fmas_f64 v[2:3], v[2:3], v[8:9], v[14:15]
	v_div_fixup_f64 v[10:11], v[2:3], v[6:7], v[4:5]
	s_clause 0x2
	scratch_load_b64 v[2:3], off, off offset:368 th:TH_LOAD_LU
	scratch_store_b64 off, v[106:107], off offset:368
	scratch_store_b64 off, v[10:11], off offset:376
	s_wait_loadcnt 0x0
	v_mul_f64_e32 v[14:15], v[2:3], v[2:3]
	s_delay_alu instid0(VALU_DEP_1) | instskip(NEXT) | instid1(VALU_DEP_1)
	v_div_scale_f64 v[2:3], null, v[12:13], v[12:13], v[14:15]
	v_rcp_f64_e32 v[8:9], v[2:3]
	v_nop
	s_delay_alu instid0(TRANS32_DEP_1) | instskip(NEXT) | instid1(VALU_DEP_1)
	v_fma_f64 v[20:21], -v[2:3], v[8:9], 1.0
	v_fmac_f64_e32 v[8:9], v[8:9], v[20:21]
	s_delay_alu instid0(VALU_DEP_1) | instskip(NEXT) | instid1(VALU_DEP_1)
	v_fma_f64 v[20:21], -v[2:3], v[8:9], 1.0
	v_fmac_f64_e32 v[8:9], v[8:9], v[20:21]
	v_div_scale_f64 v[20:21], vcc_lo, v[14:15], v[12:13], v[14:15]
	s_delay_alu instid0(VALU_DEP_1) | instskip(NEXT) | instid1(VALU_DEP_1)
	v_mul_f64_e32 v[32:33], v[20:21], v[8:9]
	v_fma_f64 v[2:3], -v[2:3], v[32:33], v[20:21]
	s_delay_alu instid0(VALU_DEP_1) | instskip(NEXT) | instid1(VALU_DEP_1)
	v_div_fmas_f64 v[2:3], v[2:3], v[8:9], v[32:33]
	v_div_fixup_f64 v[2:3], v[2:3], v[12:13], v[14:15]
	v_mul_f64_e32 v[12:13], v[36:37], v[12:13]
	s_delay_alu instid0(VALU_DEP_2) | instskip(NEXT) | instid1(VALU_DEP_1)
	v_add_f64_e32 v[46:47], 1.0, v[2:3]
	v_div_scale_f64 v[2:3], null, v[46:47], v[46:47], v[30:31]
	s_delay_alu instid0(VALU_DEP_1) | instskip(SKIP_1) | instid1(TRANS32_DEP_1)
	v_rcp_f64_e32 v[8:9], v[2:3]
	v_nop
	v_fma_f64 v[20:21], -v[2:3], v[8:9], 1.0
	s_delay_alu instid0(VALU_DEP_1) | instskip(NEXT) | instid1(VALU_DEP_1)
	v_fmac_f64_e32 v[8:9], v[8:9], v[20:21]
	v_fma_f64 v[20:21], -v[2:3], v[8:9], 1.0
	s_delay_alu instid0(VALU_DEP_1) | instskip(SKIP_1) | instid1(VALU_DEP_1)
	v_fmac_f64_e32 v[8:9], v[8:9], v[20:21]
	v_div_scale_f64 v[20:21], vcc_lo, v[30:31], v[46:47], v[30:31]
	v_mul_f64_e32 v[32:33], v[20:21], v[8:9]
	s_delay_alu instid0(VALU_DEP_1) | instskip(NEXT) | instid1(VALU_DEP_1)
	v_fma_f64 v[2:3], -v[2:3], v[32:33], v[20:21]
	v_div_fmas_f64 v[2:3], v[2:3], v[8:9], v[32:33]
	v_mul_f64_e32 v[8:9], v[40:41], v[62:63]
	s_delay_alu instid0(VALU_DEP_2) | instskip(NEXT) | instid1(VALU_DEP_2)
	v_div_fixup_f64 v[20:21], v[2:3], v[46:47], v[30:31]
	v_div_scale_f64 v[32:33], null, v[66:67], v[66:67], v[8:9]
	v_add_f64_e64 v[2:3], v[116:117], -v[36:37]
	v_add_f64_e32 v[30:31], v[30:31], v[30:31]
	s_delay_alu instid0(VALU_DEP_3) | instskip(NEXT) | instid1(VALU_DEP_1)
	v_rcp_f64_e32 v[38:39], v[32:33]
	v_mul_f64_e32 v[14:15], v[14:15], v[30:31]
	v_mul_f64_e32 v[30:31], v[46:47], v[46:47]
	s_delay_alu instid0(VALU_DEP_1) | instskip(NEXT) | instid1(TRANS32_DEP_1)
	v_mul_f64_e32 v[12:13], v[12:13], v[30:31]
	v_fma_f64 v[42:43], -v[32:33], v[38:39], 1.0
	s_delay_alu instid0(VALU_DEP_2) | instskip(NEXT) | instid1(VALU_DEP_2)
	v_div_scale_f64 v[30:31], null, v[12:13], v[12:13], v[14:15]
	v_fmac_f64_e32 v[38:39], v[38:39], v[42:43]
	s_delay_alu instid0(VALU_DEP_2) | instskip(NEXT) | instid1(VALU_DEP_1)
	v_rcp_f64_e32 v[46:47], v[30:31]
	v_fma_f64 v[42:43], -v[32:33], v[38:39], 1.0
	s_delay_alu instid0(VALU_DEP_1) | instskip(SKIP_1) | instid1(VALU_DEP_1)
	v_fmac_f64_e32 v[38:39], v[38:39], v[42:43]
	v_div_scale_f64 v[42:43], vcc_lo, v[8:9], v[66:67], v[8:9]
	v_mul_f64_e32 v[58:59], v[42:43], v[38:39]
	s_delay_alu instid0(VALU_DEP_1) | instskip(NEXT) | instid1(VALU_DEP_1)
	v_fma_f64 v[32:33], -v[32:33], v[58:59], v[42:43]
	v_div_fmas_f64 v[32:33], v[32:33], v[38:39], v[58:59]
	s_delay_alu instid0(VALU_DEP_1) | instskip(NEXT) | instid1(VALU_DEP_1)
	v_div_fixup_f64 v[8:9], v[32:33], v[66:67], v[8:9]
	v_add_f64_e32 v[68:69], 1.0, v[8:9]
	s_delay_alu instid0(VALU_DEP_1) | instskip(NEXT) | instid1(VALU_DEP_1)
	v_div_scale_f64 v[8:9], null, v[68:69], v[68:69], 1.0
	v_rcp_f64_e32 v[32:33], v[8:9]
	v_nop
	s_delay_alu instid0(TRANS32_DEP_1) | instskip(NEXT) | instid1(VALU_DEP_1)
	v_fma_f64 v[38:39], -v[8:9], v[32:33], 1.0
	v_fmac_f64_e32 v[32:33], v[32:33], v[38:39]
	s_delay_alu instid0(VALU_DEP_1) | instskip(NEXT) | instid1(VALU_DEP_1)
	v_fma_f64 v[38:39], -v[8:9], v[32:33], 1.0
	v_fmac_f64_e32 v[32:33], v[32:33], v[38:39]
	v_div_scale_f64 v[38:39], vcc_lo, 1.0, v[68:69], 1.0
	s_delay_alu instid0(VALU_DEP_1) | instskip(NEXT) | instid1(VALU_DEP_1)
	v_mul_f64_e32 v[42:43], v[38:39], v[32:33]
	v_fma_f64 v[8:9], -v[8:9], v[42:43], v[38:39]
	s_delay_alu instid0(VALU_DEP_1) | instskip(SKIP_1) | instid1(VALU_DEP_2)
	v_div_fmas_f64 v[8:9], v[8:9], v[32:33], v[42:43]
	v_fma_f64 v[32:33], v[2:3], v[118:119], -v[20:21]
	v_div_fixup_f64 v[8:9], v[8:9], v[68:69], 1.0
	s_delay_alu instid0(VALU_DEP_2) | instskip(NEXT) | instid1(VALU_DEP_1)
	v_mul_f64_e32 v[32:33], v[104:105], v[32:33]
	v_div_scale_f64 v[38:39], null, v[86:87], v[86:87], v[32:33]
	s_delay_alu instid0(VALU_DEP_1) | instskip(SKIP_1) | instid1(TRANS32_DEP_1)
	v_rcp_f64_e32 v[42:43], v[38:39]
	v_nop
	v_fma_f64 v[58:59], -v[38:39], v[42:43], 1.0
	s_delay_alu instid0(VALU_DEP_1) | instskip(NEXT) | instid1(VALU_DEP_1)
	v_fmac_f64_e32 v[42:43], v[42:43], v[58:59]
	v_fma_f64 v[58:59], -v[38:39], v[42:43], 1.0
	s_delay_alu instid0(VALU_DEP_1) | instskip(SKIP_1) | instid1(VALU_DEP_1)
	v_fmac_f64_e32 v[42:43], v[42:43], v[58:59]
	v_div_scale_f64 v[58:59], vcc_lo, v[32:33], v[86:87], v[32:33]
	v_mul_f64_e32 v[76:77], v[58:59], v[42:43]
	s_delay_alu instid0(VALU_DEP_1) | instskip(NEXT) | instid1(VALU_DEP_1)
	v_fma_f64 v[38:39], -v[38:39], v[76:77], v[58:59]
	v_div_fmas_f64 v[38:39], v[38:39], v[42:43], v[76:77]
	s_delay_alu instid0(VALU_DEP_1) | instskip(SKIP_1) | instid1(VALU_DEP_1)
	v_div_fixup_f64 v[32:33], v[38:39], v[86:87], v[32:33]
	v_fma_f64 v[38:39], -2.0, v[24:25], v[106:107]
	v_add_f64_e32 v[38:39], v[10:11], v[38:39]
	scratch_load_b64 v[10:11], off, off     ; 8-byte Folded Reload
	s_wait_loadcnt 0x0
	v_mul_f64_e32 v[42:43], v[10:11], v[38:39]
	v_mul_f64_e32 v[38:39], v[28:29], v[86:87]
	s_delay_alu instid0(VALU_DEP_1) | instskip(NEXT) | instid1(VALU_DEP_1)
	v_div_scale_f64 v[58:59], null, v[38:39], v[38:39], v[42:43]
	v_rcp_f64_e32 v[76:77], v[58:59]
	v_nop
	s_delay_alu instid0(TRANS32_DEP_1) | instskip(NEXT) | instid1(VALU_DEP_1)
	v_fma_f64 v[88:89], -v[58:59], v[76:77], 1.0
	v_fmac_f64_e32 v[76:77], v[76:77], v[88:89]
	s_delay_alu instid0(VALU_DEP_1) | instskip(NEXT) | instid1(VALU_DEP_1)
	v_fma_f64 v[88:89], -v[58:59], v[76:77], 1.0
	v_fmac_f64_e32 v[76:77], v[76:77], v[88:89]
	v_div_scale_f64 v[88:89], vcc_lo, v[42:43], v[38:39], v[42:43]
	s_delay_alu instid0(VALU_DEP_1) | instskip(NEXT) | instid1(VALU_DEP_1)
	v_mul_f64_e32 v[106:107], v[88:89], v[76:77]
	v_fma_f64 v[58:59], -v[58:59], v[106:107], v[88:89]
	s_delay_alu instid0(VALU_DEP_1) | instskip(NEXT) | instid1(VALU_DEP_1)
	v_div_fmas_f64 v[58:59], v[58:59], v[76:77], v[106:107]
	v_div_fixup_f64 v[42:43], v[58:59], v[38:39], v[42:43]
	s_delay_alu instid0(VALU_DEP_1) | instskip(SKIP_1) | instid1(VALU_DEP_2)
	v_add_f64_e64 v[58:59], v[32:33], -v[42:43]
	v_add_f64_e32 v[42:43], v[40:41], v[40:41]
	v_fmac_f64_e32 v[58:59], v[44:45], v[102:103]
	s_delay_alu instid0(VALU_DEP_2) | instskip(SKIP_1) | instid1(VALU_DEP_3)
	v_mul_f64_e32 v[42:43], v[42:43], v[62:63]
	v_mul_f64_e32 v[62:63], v[68:69], v[68:69]
	;; [unrolled: 1-line block ×3, first 2 shown]
	s_delay_alu instid0(VALU_DEP_2) | instskip(NEXT) | instid1(VALU_DEP_1)
	v_mul_f64_e32 v[60:61], v[60:61], v[62:63]
	v_div_scale_f64 v[62:63], null, v[60:61], v[60:61], v[42:43]
	s_delay_alu instid0(VALU_DEP_1) | instskip(SKIP_1) | instid1(TRANS32_DEP_1)
	v_rcp_f64_e32 v[66:67], v[62:63]
	v_nop
	v_fma_f64 v[68:69], -v[62:63], v[66:67], 1.0
	s_delay_alu instid0(VALU_DEP_1) | instskip(NEXT) | instid1(VALU_DEP_1)
	v_fmac_f64_e32 v[66:67], v[66:67], v[68:69]
	v_fma_f64 v[68:69], -v[62:63], v[66:67], 1.0
	s_delay_alu instid0(VALU_DEP_1) | instskip(SKIP_1) | instid1(VALU_DEP_1)
	v_fmac_f64_e32 v[66:67], v[66:67], v[68:69]
	v_div_scale_f64 v[68:69], vcc_lo, v[42:43], v[60:61], v[42:43]
	v_mul_f64_e32 v[76:77], v[68:69], v[66:67]
	s_delay_alu instid0(VALU_DEP_1) | instskip(NEXT) | instid1(VALU_DEP_1)
	v_fma_f64 v[62:63], -v[62:63], v[76:77], v[68:69]
	v_div_fmas_f64 v[62:63], v[62:63], v[66:67], v[76:77]
	s_delay_alu instid0(VALU_DEP_1) | instskip(SKIP_1) | instid1(VALU_DEP_1)
	v_div_fixup_f64 v[42:43], v[62:63], v[60:61], v[42:43]
	v_mul_f64_e32 v[60:61], v[72:73], v[16:17]
	v_mul_f64_e32 v[60:61], v[60:61], v[96:97]
	s_delay_alu instid0(VALU_DEP_1) | instskip(NEXT) | instid1(VALU_DEP_1)
	v_mul_f64_e32 v[60:61], v[60:61], v[26:27]
	v_div_scale_f64 v[62:63], null, v[64:65], v[64:65], v[60:61]
	s_delay_alu instid0(VALU_DEP_1) | instskip(SKIP_1) | instid1(TRANS32_DEP_1)
	v_rcp_f64_e32 v[66:67], v[62:63]
	v_nop
	v_fma_f64 v[68:69], -v[62:63], v[66:67], 1.0
	s_delay_alu instid0(VALU_DEP_1) | instskip(NEXT) | instid1(VALU_DEP_1)
	v_fmac_f64_e32 v[66:67], v[66:67], v[68:69]
	v_fma_f64 v[68:69], -v[62:63], v[66:67], 1.0
	s_delay_alu instid0(VALU_DEP_1) | instskip(SKIP_1) | instid1(VALU_DEP_1)
	v_fmac_f64_e32 v[66:67], v[66:67], v[68:69]
	v_div_scale_f64 v[68:69], vcc_lo, v[60:61], v[64:65], v[60:61]
	v_mul_f64_e32 v[76:77], v[68:69], v[66:67]
	s_delay_alu instid0(VALU_DEP_1) | instskip(NEXT) | instid1(VALU_DEP_1)
	v_fma_f64 v[62:63], -v[62:63], v[76:77], v[68:69]
	v_div_fmas_f64 v[62:63], v[62:63], v[66:67], v[76:77]
	s_delay_alu instid0(VALU_DEP_1) | instskip(SKIP_1) | instid1(VALU_DEP_1)
	v_div_fixup_f64 v[60:61], v[62:63], v[64:65], v[60:61]
	v_fma_f64 v[62:63], -v[30:31], v[46:47], 1.0
	v_fmac_f64_e32 v[46:47], v[46:47], v[62:63]
	s_delay_alu instid0(VALU_DEP_1) | instskip(NEXT) | instid1(VALU_DEP_1)
	v_fma_f64 v[62:63], -v[30:31], v[46:47], 1.0
	v_fmac_f64_e32 v[46:47], v[46:47], v[62:63]
	v_div_scale_f64 v[62:63], vcc_lo, v[14:15], v[12:13], v[14:15]
	s_delay_alu instid0(VALU_DEP_1) | instskip(NEXT) | instid1(VALU_DEP_1)
	v_mul_f64_e32 v[66:67], v[62:63], v[46:47]
	v_fma_f64 v[30:31], -v[30:31], v[66:67], v[62:63]
	s_delay_alu instid0(VALU_DEP_1) | instskip(NEXT) | instid1(VALU_DEP_1)
	v_div_fmas_f64 v[30:31], v[30:31], v[46:47], v[66:67]
	v_div_fixup_f64 v[12:13], v[30:31], v[12:13], v[14:15]
	v_div_scale_f64 v[14:15], null, v[6:7], v[6:7], v[22:23]
	s_delay_alu instid0(VALU_DEP_1) | instskip(SKIP_1) | instid1(TRANS32_DEP_1)
	v_rcp_f64_e32 v[30:31], v[14:15]
	v_nop
	v_fma_f64 v[46:47], -v[14:15], v[30:31], 1.0
	s_delay_alu instid0(VALU_DEP_1) | instskip(NEXT) | instid1(VALU_DEP_1)
	v_fmac_f64_e32 v[30:31], v[30:31], v[46:47]
	v_fma_f64 v[46:47], -v[14:15], v[30:31], 1.0
	s_delay_alu instid0(VALU_DEP_1) | instskip(SKIP_1) | instid1(VALU_DEP_1)
	v_fmac_f64_e32 v[30:31], v[30:31], v[46:47]
	v_div_scale_f64 v[46:47], vcc_lo, v[22:23], v[6:7], v[22:23]
	v_mul_f64_e32 v[62:63], v[46:47], v[30:31]
	s_delay_alu instid0(VALU_DEP_1) | instskip(NEXT) | instid1(VALU_DEP_1)
	v_fma_f64 v[14:15], -v[14:15], v[62:63], v[46:47]
	v_div_fmas_f64 v[14:15], v[14:15], v[30:31], v[62:63]
	s_delay_alu instid0(VALU_DEP_1) | instskip(SKIP_1) | instid1(VALU_DEP_1)
	v_div_fixup_f64 v[14:15], v[14:15], v[6:7], v[22:23]
	v_mul_f64_e32 v[6:7], v[6:7], v[6:7]
	v_div_scale_f64 v[22:23], null, v[6:7], v[6:7], v[4:5]
	s_delay_alu instid0(VALU_DEP_1) | instskip(SKIP_1) | instid1(TRANS32_DEP_1)
	v_rcp_f64_e32 v[30:31], v[22:23]
	v_nop
	v_fma_f64 v[46:47], -v[22:23], v[30:31], 1.0
	s_delay_alu instid0(VALU_DEP_1) | instskip(NEXT) | instid1(VALU_DEP_1)
	v_fmac_f64_e32 v[30:31], v[30:31], v[46:47]
	v_fma_f64 v[46:47], -v[22:23], v[30:31], 1.0
	s_delay_alu instid0(VALU_DEP_1) | instskip(SKIP_1) | instid1(VALU_DEP_1)
	v_fmac_f64_e32 v[30:31], v[30:31], v[46:47]
	v_div_scale_f64 v[46:47], vcc_lo, v[4:5], v[6:7], v[4:5]
	v_mul_f64_e32 v[62:63], v[46:47], v[30:31]
	s_delay_alu instid0(VALU_DEP_1) | instskip(NEXT) | instid1(VALU_DEP_1)
	v_fma_f64 v[22:23], -v[22:23], v[62:63], v[46:47]
	v_div_fmas_f64 v[22:23], v[22:23], v[30:31], v[62:63]
	s_delay_alu instid0(VALU_DEP_1) | instskip(NEXT) | instid1(VALU_DEP_1)
	v_div_fixup_f64 v[4:5], v[22:23], v[6:7], v[4:5]
	v_add_f64_e64 v[6:7], v[14:15], -v[4:5]
	v_mul_f64_e32 v[4:5], v[36:37], v[18:19]
	s_delay_alu instid0(VALU_DEP_1) | instskip(NEXT) | instid1(VALU_DEP_1)
	v_div_scale_f64 v[14:15], null, v[4:5], v[4:5], v[54:55]
	v_rcp_f64_e32 v[22:23], v[14:15]
	v_nop
	s_delay_alu instid0(TRANS32_DEP_1) | instskip(NEXT) | instid1(VALU_DEP_1)
	v_fma_f64 v[30:31], -v[14:15], v[22:23], 1.0
	v_fmac_f64_e32 v[22:23], v[22:23], v[30:31]
	s_delay_alu instid0(VALU_DEP_1) | instskip(NEXT) | instid1(VALU_DEP_1)
	v_fma_f64 v[30:31], -v[14:15], v[22:23], 1.0
	v_fmac_f64_e32 v[22:23], v[22:23], v[30:31]
	v_div_scale_f64 v[30:31], vcc_lo, v[54:55], v[4:5], v[54:55]
	s_delay_alu instid0(VALU_DEP_1) | instskip(NEXT) | instid1(VALU_DEP_1)
	v_mul_f64_e32 v[46:47], v[30:31], v[22:23]
	v_fma_f64 v[14:15], -v[14:15], v[46:47], v[30:31]
	s_delay_alu instid0(VALU_DEP_1) | instskip(NEXT) | instid1(VALU_DEP_1)
	v_div_fmas_f64 v[14:15], v[14:15], v[22:23], v[46:47]
	v_div_fixup_f64 v[14:15], v[14:15], v[4:5], v[54:55]
	v_add_f64_e64 v[4:5], -v[118:119], -v[12:13]
	s_delay_alu instid0(VALU_DEP_1) | instskip(NEXT) | instid1(VALU_DEP_1)
	v_mul_f64_e32 v[4:5], v[104:105], v[4:5]
	v_div_scale_f64 v[12:13], null, v[86:87], v[86:87], v[4:5]
	s_delay_alu instid0(VALU_DEP_1) | instskip(SKIP_1) | instid1(TRANS32_DEP_1)
	v_rcp_f64_e32 v[22:23], v[12:13]
	v_nop
	v_fma_f64 v[30:31], -v[12:13], v[22:23], 1.0
	s_delay_alu instid0(VALU_DEP_1) | instskip(NEXT) | instid1(VALU_DEP_1)
	v_fmac_f64_e32 v[22:23], v[22:23], v[30:31]
	v_fma_f64 v[30:31], -v[12:13], v[22:23], 1.0
	s_delay_alu instid0(VALU_DEP_1) | instskip(SKIP_1) | instid1(VALU_DEP_1)
	v_fmac_f64_e32 v[22:23], v[22:23], v[30:31]
	v_div_scale_f64 v[30:31], vcc_lo, v[4:5], v[86:87], v[4:5]
	v_mul_f64_e32 v[46:47], v[30:31], v[22:23]
	s_delay_alu instid0(VALU_DEP_1) | instskip(NEXT) | instid1(VALU_DEP_1)
	v_fma_f64 v[12:13], -v[12:13], v[46:47], v[30:31]
	v_div_fmas_f64 v[12:13], v[12:13], v[22:23], v[46:47]
	s_delay_alu instid0(VALU_DEP_1) | instskip(SKIP_1) | instid1(VALU_DEP_2)
	v_div_fixup_f64 v[4:5], v[12:13], v[86:87], v[4:5]
	v_add_f64_e32 v[12:13], v[60:61], v[60:61]
	v_add_f64_e64 v[4:5], v[4:5], -v[102:103]
	s_delay_alu instid0(VALU_DEP_2) | instskip(NEXT) | instid1(VALU_DEP_1)
	v_fmac_f64_e32 v[12:13], v[108:109], v[14:15]
	v_add_f64_e32 v[6:7], v[6:7], v[12:13]
	s_delay_alu instid0(VALU_DEP_1) | instskip(NEXT) | instid1(VALU_DEP_1)
	v_mul_f64_e32 v[6:7], v[10:11], v[6:7]
	v_div_scale_f64 v[12:13], null, v[38:39], v[38:39], v[6:7]
	s_delay_alu instid0(VALU_DEP_1) | instskip(SKIP_1) | instid1(TRANS32_DEP_1)
	v_rcp_f64_e32 v[14:15], v[12:13]
	v_nop
	v_fma_f64 v[22:23], -v[12:13], v[14:15], 1.0
	s_delay_alu instid0(VALU_DEP_1) | instskip(NEXT) | instid1(VALU_DEP_1)
	v_fmac_f64_e32 v[14:15], v[14:15], v[22:23]
	v_fma_f64 v[22:23], -v[12:13], v[14:15], 1.0
	s_delay_alu instid0(VALU_DEP_1) | instskip(SKIP_1) | instid1(VALU_DEP_1)
	v_fmac_f64_e32 v[14:15], v[14:15], v[22:23]
	v_div_scale_f64 v[22:23], vcc_lo, v[6:7], v[38:39], v[6:7]
	v_mul_f64_e32 v[30:31], v[22:23], v[14:15]
	s_delay_alu instid0(VALU_DEP_1) | instskip(NEXT) | instid1(VALU_DEP_1)
	v_fma_f64 v[12:13], -v[12:13], v[30:31], v[22:23]
	v_div_fmas_f64 v[12:13], v[12:13], v[14:15], v[30:31]
	s_delay_alu instid0(VALU_DEP_1) | instskip(NEXT) | instid1(VALU_DEP_1)
	v_div_fixup_f64 v[6:7], v[12:13], v[38:39], v[6:7]
                                        ; implicit-def: $vgpr38_vgpr39
	v_add_f64_e64 v[6:7], v[4:5], -v[6:7]
	v_mul_f64_e32 v[4:5], v[42:43], v[58:59]
	s_delay_alu instid0(VALU_DEP_1) | instskip(NEXT) | instid1(VALU_DEP_1)
	v_fmac_f64_e32 v[4:5], v[8:9], v[6:7]
	v_cmp_ngt_f64_e64 s0, |v[4:5]|, s[0:1]
	s_wait_xcnt 0x0
	s_and_saveexec_b32 s1, s0
	s_delay_alu instid0(SALU_CYCLE_1)
	s_xor_b32 s0, exec_lo, s1
; %bb.58:
	v_mul_f64_e32 v[38:39], s[12:13], v[32:33]
                                        ; implicit-def: $vgpr4_vgpr5
                                        ; implicit-def: $vgpr32_vgpr33
; %bb.59:
	s_or_saveexec_b32 s1, s0
	v_ashrrev_i32_e32 v123, 31, v122
	v_lshl_add_u64 v[22:23], v[124:125], 3, s[8:9]
	s_xor_b32 exec_lo, exec_lo, s1
	s_cbranch_execz .LBB0_61
; %bb.60:
	v_mul_f64_e32 v[6:7], s[12:13], v[4:5]
	s_mov_b64 s[2:3], 0x3e5ade156a5dcb37
	s_delay_alu instid0(VALU_DEP_1) | instskip(SKIP_2) | instid1(VALU_DEP_3)
	v_mul_f64_e32 v[8:9], 0x3ff71547652b82fe, v[6:7]
	v_cmp_nlt_f64_e32 vcc_lo, 0x40900000, v[6:7]
	v_cmp_ngt_f64_e64 s0, 0xc090cc00, v[6:7]
	v_rndne_f64_e32 v[8:9], v[8:9]
	s_delay_alu instid0(VALU_DEP_1) | instskip(SKIP_1) | instid1(VALU_DEP_2)
	v_fmamk_f64 v[12:13], v[8:9], 0xbfe62e42fefa39ef, v[6:7]
	v_cvt_i32_f64_e32 v10, v[8:9]
	v_fmamk_f64 v[12:13], v[8:9], 0xbc7abc9e3b39803f, v[12:13]
	s_delay_alu instid0(VALU_DEP_1) | instskip(NEXT) | instid1(VALU_DEP_1)
	v_fmaak_f64 v[14:15], s[2:3], v[12:13], 0x3e928af3fca7ab0c
	v_fmaak_f64 v[14:15], v[12:13], v[14:15], 0x3ec71dee623fde64
	s_delay_alu instid0(VALU_DEP_1) | instskip(NEXT) | instid1(VALU_DEP_1)
	v_fmaak_f64 v[14:15], v[12:13], v[14:15], 0x3efa01997c89e6b0
	v_fmaak_f64 v[14:15], v[12:13], v[14:15], 0x3f2a01a014761f6e
	;; [unrolled: 3-line block ×4, first 2 shown]
	s_delay_alu instid0(VALU_DEP_1) | instskip(NEXT) | instid1(VALU_DEP_1)
	v_fmaak_f64 v[14:15], v[12:13], v[14:15], 0x3fe000000000000b
	v_fma_f64 v[14:15], v[12:13], v[14:15], 1.0
	s_delay_alu instid0(VALU_DEP_1) | instskip(NEXT) | instid1(VALU_DEP_1)
	v_fma_f64 v[8:9], v[12:13], v[14:15], 1.0
	v_ldexp_f64 v[8:9], v[8:9], v10
	s_delay_alu instid0(VALU_DEP_1) | instskip(NEXT) | instid1(VALU_DEP_1)
	v_add_f64_e32 v[8:9], -1.0, v[8:9]
	v_cndmask_b32_e32 v9, 0x7ff00000, v9, vcc_lo
	s_and_b32 vcc_lo, s0, vcc_lo
	s_delay_alu instid0(VALU_DEP_2) | instskip(NEXT) | instid1(VALU_DEP_2)
	v_cndmask_b32_e32 v6, 0, v8, vcc_lo
	v_cndmask_b32_e64 v7, 0xbff00000, v9, s0
	s_delay_alu instid0(VALU_DEP_1) | instskip(NEXT) | instid1(VALU_DEP_1)
	v_mul_f64_e32 v[6:7], v[32:33], v[6:7]
	v_div_scale_f64 v[8:9], null, v[4:5], v[4:5], v[6:7]
	s_delay_alu instid0(VALU_DEP_1) | instskip(SKIP_1) | instid1(TRANS32_DEP_1)
	v_rcp_f64_e32 v[12:13], v[8:9]
	v_nop
	v_fma_f64 v[14:15], -v[8:9], v[12:13], 1.0
	s_delay_alu instid0(VALU_DEP_1) | instskip(NEXT) | instid1(VALU_DEP_1)
	v_fmac_f64_e32 v[12:13], v[12:13], v[14:15]
	v_fma_f64 v[14:15], -v[8:9], v[12:13], 1.0
	s_delay_alu instid0(VALU_DEP_1) | instskip(SKIP_1) | instid1(VALU_DEP_1)
	v_fmac_f64_e32 v[12:13], v[12:13], v[14:15]
	v_div_scale_f64 v[14:15], vcc_lo, v[6:7], v[4:5], v[6:7]
	v_mul_f64_e32 v[30:31], v[14:15], v[12:13]
	s_delay_alu instid0(VALU_DEP_1) | instskip(NEXT) | instid1(VALU_DEP_1)
	v_fma_f64 v[8:9], -v[8:9], v[30:31], v[14:15]
	v_div_fmas_f64 v[8:9], v[8:9], v[12:13], v[30:31]
	s_delay_alu instid0(VALU_DEP_1)
	v_div_fixup_f64 v[38:39], v[8:9], v[4:5], v[6:7]
.LBB0_61:
	s_or_b32 exec_lo, exec_lo, s1
	scratch_load_b64 v[4:5], off, off offset:344 th:TH_LOAD_LU ; 8-byte Folded Reload
	s_mov_b64 s[0:1], 0x3e45798ee2308c3a
	s_wait_loadcnt 0x0
	v_mul_f64_e32 v[6:7], v[4:5], v[4:5]
	v_mul_f64_e32 v[4:5], v[116:117], v[116:117]
	s_delay_alu instid0(VALU_DEP_1) | instskip(SKIP_1) | instid1(VALU_DEP_2)
	v_div_scale_f64 v[8:9], null, v[4:5], v[4:5], v[6:7]
	v_div_scale_f64 v[30:31], vcc_lo, v[6:7], v[4:5], v[6:7]
	v_rcp_f64_e32 v[12:13], v[8:9]
	v_nop
	s_delay_alu instid0(TRANS32_DEP_1) | instskip(NEXT) | instid1(VALU_DEP_1)
	v_fma_f64 v[14:15], -v[8:9], v[12:13], 1.0
	v_fmac_f64_e32 v[12:13], v[12:13], v[14:15]
	s_delay_alu instid0(VALU_DEP_1) | instskip(NEXT) | instid1(VALU_DEP_1)
	v_fma_f64 v[14:15], -v[8:9], v[12:13], 1.0
	v_fmac_f64_e32 v[12:13], v[12:13], v[14:15]
	s_delay_alu instid0(VALU_DEP_1) | instskip(NEXT) | instid1(VALU_DEP_1)
	v_mul_f64_e32 v[14:15], v[30:31], v[12:13]
	v_fma_f64 v[8:9], -v[8:9], v[14:15], v[30:31]
	s_delay_alu instid0(VALU_DEP_1) | instskip(SKIP_4) | instid1(VALU_DEP_1)
	v_div_fmas_f64 v[8:9], v[8:9], v[12:13], v[14:15]
	s_clause 0x1
	scratch_load_b64 v[10:11], off, off offset:336 th:TH_LOAD_LU
	scratch_load_b64 v[12:13], off, off offset:352 th:TH_LOAD_LU
	v_div_fixup_f64 v[8:9], v[8:9], v[4:5], v[6:7]
	v_add_f64_e32 v[14:15], 1.0, v[8:9]
	s_wait_loadcnt 0x0
	v_add_f64_e64 v[12:13], v[10:11], -v[12:13]
	s_delay_alu instid0(VALU_DEP_1) | instskip(SKIP_1) | instid1(VALU_DEP_2)
	v_div_scale_f64 v[8:9], null, v[14:15], v[14:15], v[12:13]
	v_div_scale_f64 v[42:43], vcc_lo, v[12:13], v[14:15], v[12:13]
	v_rcp_f64_e32 v[30:31], v[8:9]
	v_nop
	s_delay_alu instid0(TRANS32_DEP_1) | instskip(NEXT) | instid1(VALU_DEP_1)
	v_fma_f64 v[32:33], -v[8:9], v[30:31], 1.0
	v_fmac_f64_e32 v[30:31], v[30:31], v[32:33]
	s_delay_alu instid0(VALU_DEP_1) | instskip(NEXT) | instid1(VALU_DEP_1)
	v_fma_f64 v[32:33], -v[8:9], v[30:31], 1.0
	v_fmac_f64_e32 v[30:31], v[30:31], v[32:33]
	s_delay_alu instid0(VALU_DEP_1) | instskip(NEXT) | instid1(VALU_DEP_1)
	v_mul_f64_e32 v[32:33], v[42:43], v[30:31]
	v_fma_f64 v[8:9], -v[8:9], v[32:33], v[42:43]
	v_add_f64_e64 v[42:43], -v[114:115], 1.0
	s_delay_alu instid0(VALU_DEP_2) | instskip(SKIP_1) | instid1(VALU_DEP_2)
	v_div_fmas_f64 v[8:9], v[8:9], v[30:31], v[32:33]
	v_mul_f64_e32 v[30:31], v[114:115], v[56:57]
	v_div_fixup_f64 v[8:9], v[8:9], v[14:15], v[12:13]
	s_delay_alu instid0(VALU_DEP_1)
	v_add_f64_e64 v[8:9], v[10:11], -v[8:9]
	scratch_load_b64 v[10:11], off, off offset:328 th:TH_LOAD_LU ; 8-byte Folded Reload
	s_wait_loadcnt 0x0
	v_mul_f64_e32 v[32:33], v[10:11], v[8:9]
	scratch_load_b64 v[10:11], off, off offset:320 th:TH_LOAD_LU ; 8-byte Folded Reload
	v_mul_f64_e32 v[46:47], v[30:31], v[32:33]
	s_wait_loadcnt 0x0
	v_fma_f64 v[30:31], -v[56:57], v[32:33], -v[10:11]
	v_add_f64_e32 v[32:33], v[36:37], v[38:39]
	s_delay_alu instid0(VALU_DEP_3) | instskip(NEXT) | instid1(VALU_DEP_3)
	v_fma_f64 v[38:39], v[42:43], v[10:11], -v[46:47]
	v_cmp_ngt_f64_e64 s0, |v[30:31]|, s[0:1]
	global_store_b64 v[22:23], v[32:33], off
                                        ; implicit-def: $vgpr32_vgpr33
	s_wait_xcnt 0x0
	s_and_saveexec_b32 s1, s0
	s_delay_alu instid0(SALU_CYCLE_1)
	s_xor_b32 s0, exec_lo, s1
; %bb.62:
	v_mul_f64_e32 v[32:33], s[12:13], v[38:39]
                                        ; implicit-def: $vgpr30_vgpr31
                                        ; implicit-def: $vgpr38_vgpr39
; %bb.63:
	s_or_saveexec_b32 s1, s0
	v_dual_mul_f64 v[2:3], v[2:3], v[118:119] :: v_dual_ashrrev_i32 v113, 31, v112
	v_lshl_add_u64 v[22:23], v[122:123], 3, s[8:9]
	s_xor_b32 exec_lo, exec_lo, s1
	s_cbranch_execz .LBB0_65
; %bb.64:
	v_mul_f64_e32 v[32:33], s[12:13], v[30:31]
	s_mov_b64 s[2:3], 0x3e5ade156a5dcb37
	s_delay_alu instid0(VALU_DEP_1) | instskip(SKIP_2) | instid1(VALU_DEP_3)
	v_mul_f64_e32 v[42:43], 0x3ff71547652b82fe, v[32:33]
	v_cmp_nlt_f64_e32 vcc_lo, 0x40900000, v[32:33]
	v_cmp_ngt_f64_e64 s0, 0xc090cc00, v[32:33]
	v_rndne_f64_e32 v[42:43], v[42:43]
	s_delay_alu instid0(VALU_DEP_1) | instskip(SKIP_1) | instid1(VALU_DEP_2)
	v_fmamk_f64 v[46:47], v[42:43], 0xbfe62e42fefa39ef, v[32:33]
	v_cvt_i32_f64_e32 v10, v[42:43]
	v_fmamk_f64 v[46:47], v[42:43], 0xbc7abc9e3b39803f, v[46:47]
	s_delay_alu instid0(VALU_DEP_1) | instskip(NEXT) | instid1(VALU_DEP_1)
	v_fmaak_f64 v[54:55], s[2:3], v[46:47], 0x3e928af3fca7ab0c
	v_fmaak_f64 v[54:55], v[46:47], v[54:55], 0x3ec71dee623fde64
	s_delay_alu instid0(VALU_DEP_1) | instskip(NEXT) | instid1(VALU_DEP_1)
	v_fmaak_f64 v[54:55], v[46:47], v[54:55], 0x3efa01997c89e6b0
	v_fmaak_f64 v[54:55], v[46:47], v[54:55], 0x3f2a01a014761f6e
	;; [unrolled: 3-line block ×4, first 2 shown]
	s_delay_alu instid0(VALU_DEP_1) | instskip(NEXT) | instid1(VALU_DEP_1)
	v_fmaak_f64 v[54:55], v[46:47], v[54:55], 0x3fe000000000000b
	v_fma_f64 v[54:55], v[46:47], v[54:55], 1.0
	s_delay_alu instid0(VALU_DEP_1) | instskip(NEXT) | instid1(VALU_DEP_1)
	v_fma_f64 v[42:43], v[46:47], v[54:55], 1.0
	v_ldexp_f64 v[42:43], v[42:43], v10
	s_delay_alu instid0(VALU_DEP_1) | instskip(NEXT) | instid1(VALU_DEP_1)
	v_add_f64_e32 v[42:43], -1.0, v[42:43]
	v_cndmask_b32_e32 v10, 0x7ff00000, v43, vcc_lo
	s_and_b32 vcc_lo, s0, vcc_lo
	s_delay_alu instid0(VALU_DEP_2) | instskip(NEXT) | instid1(VALU_DEP_2)
	v_cndmask_b32_e32 v32, 0, v42, vcc_lo
	v_cndmask_b32_e64 v33, 0xbff00000, v10, s0
	s_delay_alu instid0(VALU_DEP_1) | instskip(NEXT) | instid1(VALU_DEP_1)
	v_mul_f64_e32 v[32:33], v[38:39], v[32:33]
	v_div_scale_f64 v[38:39], null, v[30:31], v[30:31], v[32:33]
	s_delay_alu instid0(VALU_DEP_1) | instskip(SKIP_1) | instid1(TRANS32_DEP_1)
	v_rcp_f64_e32 v[42:43], v[38:39]
	v_nop
	v_fma_f64 v[46:47], -v[38:39], v[42:43], 1.0
	s_delay_alu instid0(VALU_DEP_1) | instskip(NEXT) | instid1(VALU_DEP_1)
	v_fmac_f64_e32 v[42:43], v[42:43], v[46:47]
	v_fma_f64 v[46:47], -v[38:39], v[42:43], 1.0
	s_delay_alu instid0(VALU_DEP_1) | instskip(SKIP_1) | instid1(VALU_DEP_1)
	v_fmac_f64_e32 v[42:43], v[42:43], v[46:47]
	v_div_scale_f64 v[46:47], vcc_lo, v[32:33], v[30:31], v[32:33]
	v_mul_f64_e32 v[54:55], v[46:47], v[42:43]
	s_delay_alu instid0(VALU_DEP_1) | instskip(NEXT) | instid1(VALU_DEP_1)
	v_fma_f64 v[38:39], -v[38:39], v[54:55], v[46:47]
	v_div_fmas_f64 v[38:39], v[38:39], v[42:43], v[54:55]
	s_delay_alu instid0(VALU_DEP_1)
	v_div_fixup_f64 v[32:33], v[38:39], v[30:31], v[32:33]
.LBB0_65:
	s_or_b32 exec_lo, exec_lo, s1
	v_div_scale_f64 v[30:31], null, v[8:9], v[8:9], v[126:127]
	s_delay_alu instid0(VALU_DEP_2)
	v_add_f64_e32 v[32:33], v[114:115], v[32:33]
	s_clause 0x1
	scratch_load_b64 v[10:11], off, off offset:312 th:TH_LOAD_LU
	scratch_load_b64 v[16:17], off, off offset:304 th:TH_LOAD_LU
	v_mul_f64_e32 v[4:5], v[116:117], v[4:5]
	s_mov_b64 s[0:1], 0x3fe5555555555555
	v_rcp_f64_e32 v[38:39], v[30:31]
	global_store_b64 v[22:23], v[32:33], off
	s_wait_xcnt 0x0
	v_dual_add_f64 v[22:23], v[116:117], -v[56:57] :: v_dual_mov_b32 v32, 0
	v_fma_f64 v[42:43], -v[30:31], v[38:39], 1.0
	s_delay_alu instid0(VALU_DEP_1) | instskip(NEXT) | instid1(VALU_DEP_1)
	v_fmac_f64_e32 v[38:39], v[38:39], v[42:43]
	v_fma_f64 v[42:43], -v[30:31], v[38:39], 1.0
	s_delay_alu instid0(VALU_DEP_1) | instskip(SKIP_1) | instid1(VALU_DEP_1)
	v_fmac_f64_e32 v[38:39], v[38:39], v[42:43]
	v_div_scale_f64 v[42:43], vcc_lo, v[126:127], v[8:9], v[126:127]
	v_mul_f64_e32 v[46:47], v[42:43], v[38:39]
	s_delay_alu instid0(VALU_DEP_1) | instskip(NEXT) | instid1(VALU_DEP_1)
	v_fma_f64 v[30:31], -v[30:31], v[46:47], v[42:43]
	v_div_fmas_f64 v[30:31], v[30:31], v[38:39], v[46:47]
	v_mul_f64_e32 v[38:39], v[114:115], v[94:95]
	s_delay_alu instid0(VALU_DEP_2) | instskip(SKIP_2) | instid1(VALU_DEP_2)
	v_div_fixup_f64 v[54:55], v[30:31], v[8:9], v[126:127]
	s_wait_loadcnt 0x0
	v_mul_f64_e32 v[124:125], v[22:23], v[16:17]
	v_mul_f64_e32 v[30:31], v[38:39], v[54:55]
	v_fmac_f64_e32 v[110:111], v[94:95], v[54:55]
	s_delay_alu instid0(VALU_DEP_1) | instskip(NEXT) | instid1(VALU_DEP_1)
	v_div_scale_f64 v[42:43], null, v[110:111], v[110:111], v[30:31]
	v_rcp_f64_e32 v[46:47], v[42:43]
	v_nop
	s_delay_alu instid0(TRANS32_DEP_1) | instskip(NEXT) | instid1(VALU_DEP_1)
	v_fma_f64 v[58:59], -v[42:43], v[46:47], 1.0
	v_fmac_f64_e32 v[46:47], v[46:47], v[58:59]
	s_delay_alu instid0(VALU_DEP_1) | instskip(NEXT) | instid1(VALU_DEP_1)
	v_fma_f64 v[58:59], -v[42:43], v[46:47], 1.0
	v_fmac_f64_e32 v[46:47], v[46:47], v[58:59]
	v_div_scale_f64 v[58:59], vcc_lo, v[30:31], v[110:111], v[30:31]
	s_delay_alu instid0(VALU_DEP_1) | instskip(NEXT) | instid1(VALU_DEP_1)
	v_mul_f64_e32 v[60:61], v[58:59], v[46:47]
	v_fma_f64 v[42:43], -v[42:43], v[60:61], v[58:59]
	s_delay_alu instid0(VALU_DEP_1) | instskip(SKIP_1) | instid1(VALU_DEP_2)
	v_div_fmas_f64 v[42:43], v[42:43], v[46:47], v[60:61]
	v_add_f64_e32 v[46:47], v[116:117], v[70:71]
	v_div_fixup_f64 v[30:31], v[42:43], v[110:111], v[30:31]
	v_mul_f64_e32 v[42:43], v[10:11], v[70:71]
	s_delay_alu instid0(VALU_DEP_3) | instskip(NEXT) | instid1(VALU_DEP_3)
	v_mul_f64_e32 v[62:63], v[46:47], v[46:47]
	v_fma_f64 v[2:3], -v[124:125], v[30:31], -v[2:3]
	s_delay_alu instid0(VALU_DEP_2) | instskip(NEXT) | instid1(VALU_DEP_1)
	v_div_scale_f64 v[58:59], null, v[62:63], v[62:63], v[42:43]
	v_rcp_f64_e32 v[60:61], v[58:59]
	v_nop
	s_delay_alu instid0(TRANS32_DEP_1) | instskip(NEXT) | instid1(VALU_DEP_1)
	v_fma_f64 v[66:67], -v[58:59], v[60:61], 1.0
	v_fmac_f64_e32 v[60:61], v[60:61], v[66:67]
	s_delay_alu instid0(VALU_DEP_1) | instskip(NEXT) | instid1(VALU_DEP_1)
	v_fma_f64 v[66:67], -v[58:59], v[60:61], 1.0
	v_fmac_f64_e32 v[60:61], v[60:61], v[66:67]
	v_div_scale_f64 v[66:67], vcc_lo, v[42:43], v[62:63], v[42:43]
	s_delay_alu instid0(VALU_DEP_1) | instskip(NEXT) | instid1(VALU_DEP_1)
	v_mul_f64_e32 v[68:69], v[66:67], v[60:61]
	v_fma_f64 v[58:59], -v[58:59], v[68:69], v[66:67]
	s_delay_alu instid0(VALU_DEP_1) | instskip(NEXT) | instid1(VALU_DEP_1)
	v_div_fmas_f64 v[58:59], v[58:59], v[60:61], v[68:69]
	v_div_fixup_f64 v[42:43], v[58:59], v[62:63], v[42:43]
	s_delay_alu instid0(VALU_DEP_1) | instskip(NEXT) | instid1(VALU_DEP_1)
	v_add_f64_e32 v[66:67], 1.0, v[42:43]
	v_div_scale_f64 v[42:43], null, v[66:67], v[66:67], 1.0
	s_delay_alu instid0(VALU_DEP_1) | instskip(SKIP_1) | instid1(TRANS32_DEP_1)
	v_rcp_f64_e32 v[58:59], v[42:43]
	v_nop
	v_fma_f64 v[60:61], -v[42:43], v[58:59], 1.0
	s_delay_alu instid0(VALU_DEP_1) | instskip(NEXT) | instid1(VALU_DEP_1)
	v_fmac_f64_e32 v[58:59], v[58:59], v[60:61]
	v_fma_f64 v[60:61], -v[42:43], v[58:59], 1.0
	s_delay_alu instid0(VALU_DEP_1) | instskip(SKIP_1) | instid1(VALU_DEP_1)
	v_fmac_f64_e32 v[58:59], v[58:59], v[60:61]
	v_div_scale_f64 v[60:61], vcc_lo, 1.0, v[66:67], 1.0
	v_mul_f64_e32 v[68:69], v[60:61], v[58:59]
	s_delay_alu instid0(VALU_DEP_1) | instskip(NEXT) | instid1(VALU_DEP_1)
	v_fma_f64 v[42:43], -v[42:43], v[68:69], v[60:61]
	v_div_fmas_f64 v[42:43], v[42:43], v[58:59], v[68:69]
	v_add_f64_e32 v[58:59], v[20:21], v[2:3]
	v_mul_f64_e32 v[2:3], -2.0, v[6:7]
	v_mul_f64_e32 v[6:7], v[14:15], v[14:15]
	s_delay_alu instid0(VALU_DEP_4) | instskip(NEXT) | instid1(VALU_DEP_3)
	v_div_fixup_f64 v[42:43], v[42:43], v[66:67], 1.0
	v_mul_f64_e32 v[2:3], v[2:3], v[12:13]
	s_delay_alu instid0(VALU_DEP_3) | instskip(NEXT) | instid1(VALU_DEP_3)
	v_mul_f64_e32 v[4:5], v[4:5], v[6:7]
	v_mul_f64_e32 v[22:23], v[42:43], v[58:59]
	s_delay_alu instid0(VALU_DEP_2) | instskip(NEXT) | instid1(VALU_DEP_1)
	v_div_scale_f64 v[6:7], null, v[4:5], v[4:5], v[2:3]
	v_rcp_f64_e32 v[12:13], v[6:7]
	v_nop
	s_delay_alu instid0(TRANS32_DEP_1) | instskip(NEXT) | instid1(VALU_DEP_1)
	v_fma_f64 v[14:15], -v[6:7], v[12:13], 1.0
	v_fmac_f64_e32 v[12:13], v[12:13], v[14:15]
	s_delay_alu instid0(VALU_DEP_1) | instskip(NEXT) | instid1(VALU_DEP_1)
	v_fma_f64 v[14:15], -v[6:7], v[12:13], 1.0
	v_fmac_f64_e32 v[12:13], v[12:13], v[14:15]
	v_div_scale_f64 v[14:15], vcc_lo, v[2:3], v[4:5], v[2:3]
	s_delay_alu instid0(VALU_DEP_1) | instskip(NEXT) | instid1(VALU_DEP_1)
	v_mul_f64_e32 v[20:21], v[14:15], v[12:13]
	v_fma_f64 v[6:7], -v[6:7], v[20:21], v[14:15]
	s_delay_alu instid0(VALU_DEP_1) | instskip(NEXT) | instid1(VALU_DEP_1)
	v_div_fmas_f64 v[6:7], v[6:7], v[12:13], v[20:21]
	v_div_fixup_f64 v[60:61], v[6:7], v[4:5], v[2:3]
	v_add_f64_e32 v[2:3], v[10:11], v[10:11]
	v_mul_f64_e32 v[4:5], v[66:67], v[66:67]
	v_mul_f64_e32 v[6:7], v[46:47], v[62:63]
	s_delay_alu instid0(VALU_DEP_3) | instskip(NEXT) | instid1(VALU_DEP_2)
	v_mul_f64_e32 v[2:3], v[2:3], v[70:71]
	v_mul_f64_e32 v[4:5], v[6:7], v[4:5]
	s_delay_alu instid0(VALU_DEP_1) | instskip(NEXT) | instid1(VALU_DEP_1)
	v_div_scale_f64 v[6:7], null, v[4:5], v[4:5], v[2:3]
	v_rcp_f64_e32 v[12:13], v[6:7]
	v_nop
	s_delay_alu instid0(TRANS32_DEP_1) | instskip(NEXT) | instid1(VALU_DEP_1)
	v_fma_f64 v[14:15], -v[6:7], v[12:13], 1.0
	v_fmac_f64_e32 v[12:13], v[12:13], v[14:15]
	s_delay_alu instid0(VALU_DEP_1) | instskip(NEXT) | instid1(VALU_DEP_1)
	v_fma_f64 v[14:15], -v[6:7], v[12:13], 1.0
	v_fmac_f64_e32 v[12:13], v[12:13], v[14:15]
	v_div_scale_f64 v[14:15], vcc_lo, v[2:3], v[4:5], v[2:3]
	s_delay_alu instid0(VALU_DEP_1) | instskip(NEXT) | instid1(VALU_DEP_1)
	v_mul_f64_e32 v[20:21], v[14:15], v[12:13]
	v_fma_f64 v[6:7], -v[6:7], v[20:21], v[14:15]
	s_delay_alu instid0(VALU_DEP_1) | instskip(NEXT) | instid1(VALU_DEP_1)
	v_div_fmas_f64 v[6:7], v[6:7], v[12:13], v[20:21]
	v_div_fixup_f64 v[62:63], v[6:7], v[4:5], v[2:3]
	v_mul_f64_e32 v[2:3], v[8:9], v[8:9]
	s_delay_alu instid0(VALU_DEP_1) | instskip(NEXT) | instid1(VALU_DEP_1)
	v_div_scale_f64 v[4:5], null, v[2:3], v[2:3], -v[126:127]
	v_rcp_f64_e32 v[6:7], v[4:5]
	v_nop
	s_delay_alu instid0(TRANS32_DEP_1) | instskip(NEXT) | instid1(VALU_DEP_1)
	v_fma_f64 v[8:9], -v[4:5], v[6:7], 1.0
	v_fmac_f64_e32 v[6:7], v[6:7], v[8:9]
	s_delay_alu instid0(VALU_DEP_1) | instskip(NEXT) | instid1(VALU_DEP_1)
	v_fma_f64 v[8:9], -v[4:5], v[6:7], 1.0
	v_fmac_f64_e32 v[6:7], v[6:7], v[8:9]
	v_div_scale_f64 v[8:9], vcc_lo, -v[126:127], v[2:3], -v[126:127]
	s_delay_alu instid0(VALU_DEP_1) | instskip(NEXT) | instid1(VALU_DEP_1)
	v_mul_f64_e32 v[12:13], v[8:9], v[6:7]
	v_fma_f64 v[4:5], -v[4:5], v[12:13], v[8:9]
	s_delay_alu instid0(VALU_DEP_1) | instskip(NEXT) | instid1(VALU_DEP_1)
	v_div_fmas_f64 v[4:5], v[4:5], v[6:7], v[12:13]
	v_div_fixup_f64 v[68:69], v[4:5], v[2:3], -v[126:127]
	v_div_scale_f64 v[2:3], null, v[110:111], v[110:111], v[38:39]
	s_delay_alu instid0(VALU_DEP_1) | instskip(SKIP_1) | instid1(TRANS32_DEP_1)
	v_rcp_f64_e32 v[4:5], v[2:3]
	v_nop
	v_fma_f64 v[6:7], -v[2:3], v[4:5], 1.0
	s_delay_alu instid0(VALU_DEP_1) | instskip(NEXT) | instid1(VALU_DEP_1)
	v_fmac_f64_e32 v[4:5], v[4:5], v[6:7]
	v_fma_f64 v[6:7], -v[2:3], v[4:5], 1.0
	s_delay_alu instid0(VALU_DEP_1) | instskip(SKIP_1) | instid1(VALU_DEP_1)
	v_fmac_f64_e32 v[4:5], v[4:5], v[6:7]
	v_div_scale_f64 v[6:7], vcc_lo, v[38:39], v[110:111], v[38:39]
	v_mul_f64_e32 v[8:9], v[6:7], v[4:5]
	s_delay_alu instid0(VALU_DEP_1) | instskip(NEXT) | instid1(VALU_DEP_1)
	v_fma_f64 v[2:3], -v[2:3], v[8:9], v[6:7]
	v_div_fmas_f64 v[2:3], v[2:3], v[4:5], v[8:9]
	v_cmp_eq_f64_e32 vcc_lo, 1.0, v[56:57]
	v_frexp_mant_f64_e64 v[4:5], |v[56:57]|
	s_delay_alu instid0(VALU_DEP_3) | instskip(SKIP_1) | instid1(VALU_DEP_1)
	v_div_fixup_f64 v[20:21], v[2:3], v[110:111], v[38:39]
	v_mov_b32_e32 v2, 0x3ff00000
	v_cndmask_b32_e32 v33, 0x40100000, v2, vcc_lo
	s_delay_alu instid0(VALU_DEP_4) | instskip(SKIP_3) | instid1(VALU_DEP_2)
	v_cmp_gt_f64_e32 vcc_lo, s[0:1], v[4:5]
	v_frexp_exp_i32_f64_e32 v2, v[56:57]
	s_mov_b64 s[0:1], 0x3fbdee674222de17
	v_cndmask_b32_e64 v3, 0, 1, vcc_lo
	v_subrev_co_ci_u32_e64 v10, null, 0, v2, vcc_lo
	s_delay_alu instid0(VALU_DEP_2) | instskip(NEXT) | instid1(VALU_DEP_1)
	v_ldexp_f64 v[4:5], v[4:5], v3
	v_add_f64_e32 v[6:7], 1.0, v[4:5]
	v_add_f64_e32 v[2:3], -1.0, v[4:5]
	s_delay_alu instid0(VALU_DEP_2) | instskip(NEXT) | instid1(VALU_DEP_1)
	v_add_f64_e32 v[8:9], -1.0, v[6:7]
	v_add_f64_e64 v[4:5], v[4:5], -v[8:9]
	v_rcp_f64_e32 v[8:9], v[6:7]
	v_nop
	s_delay_alu instid0(TRANS32_DEP_1) | instskip(NEXT) | instid1(VALU_DEP_1)
	v_fma_f64 v[12:13], -v[6:7], v[8:9], 1.0
	v_fmac_f64_e32 v[8:9], v[12:13], v[8:9]
	s_delay_alu instid0(VALU_DEP_1) | instskip(NEXT) | instid1(VALU_DEP_1)
	v_fma_f64 v[12:13], -v[6:7], v[8:9], 1.0
	v_fmac_f64_e32 v[8:9], v[12:13], v[8:9]
	s_delay_alu instid0(VALU_DEP_1) | instskip(NEXT) | instid1(VALU_DEP_1)
	v_mul_f64_e32 v[12:13], v[2:3], v[8:9]
	v_mul_f64_e32 v[14:15], v[6:7], v[12:13]
	s_delay_alu instid0(VALU_DEP_1) | instskip(NEXT) | instid1(VALU_DEP_1)
	v_fma_f64 v[6:7], v[12:13], v[6:7], -v[14:15]
	v_fmac_f64_e32 v[6:7], v[12:13], v[4:5]
	s_delay_alu instid0(VALU_DEP_1) | instskip(NEXT) | instid1(VALU_DEP_1)
	v_add_f64_e32 v[4:5], v[14:15], v[6:7]
	v_add_f64_e64 v[38:39], v[2:3], -v[4:5]
	v_add_f64_e64 v[14:15], v[4:5], -v[14:15]
	s_delay_alu instid0(VALU_DEP_2) | instskip(NEXT) | instid1(VALU_DEP_1)
	v_add_f64_e64 v[2:3], v[2:3], -v[38:39]
	v_add_f64_e64 v[2:3], v[2:3], -v[4:5]
	s_delay_alu instid0(VALU_DEP_3) | instskip(NEXT) | instid1(VALU_DEP_1)
	v_add_f64_e64 v[4:5], v[14:15], -v[6:7]
	v_add_f64_e32 v[2:3], v[4:5], v[2:3]
	s_delay_alu instid0(VALU_DEP_1) | instskip(NEXT) | instid1(VALU_DEP_1)
	v_add_f64_e32 v[2:3], v[38:39], v[2:3]
	v_mul_f64_e32 v[2:3], v[8:9], v[2:3]
	s_delay_alu instid0(VALU_DEP_1) | instskip(NEXT) | instid1(VALU_DEP_1)
	v_add_f64_e32 v[14:15], v[12:13], v[2:3]
	v_add_f64_e64 v[4:5], v[14:15], -v[12:13]
	v_ldexp_f64 v[8:9], v[14:15], 1
	s_delay_alu instid0(VALU_DEP_2) | instskip(SKIP_1) | instid1(VALU_DEP_2)
	v_add_f64_e64 v[12:13], v[2:3], -v[4:5]
	v_mul_f64_e32 v[2:3], v[14:15], v[14:15]
	v_add_f64_e32 v[6:7], v[12:13], v[12:13]
	s_delay_alu instid0(VALU_DEP_2) | instskip(NEXT) | instid1(VALU_DEP_1)
	v_fma_f64 v[4:5], v[14:15], v[14:15], -v[2:3]
	v_fmac_f64_e32 v[4:5], v[14:15], v[6:7]
	s_delay_alu instid0(VALU_DEP_1) | instskip(NEXT) | instid1(VALU_DEP_1)
	v_add_f64_e32 v[38:39], v[2:3], v[4:5]
	v_add_f64_e64 v[2:3], v[38:39], -v[2:3]
	v_mul_f64_e32 v[70:71], v[14:15], v[38:39]
	s_delay_alu instid0(VALU_DEP_2) | instskip(SKIP_2) | instid1(VALU_DEP_3)
	v_add_f64_e64 v[46:47], v[4:5], -v[2:3]
	v_fmaak_f64 v[2:3], s[0:1], v[38:39], 0x3fba6564968915a9
	s_mov_b64 s[0:1], 0x3fe62e42fefa39ef
	v_fma_f64 v[76:77], v[38:39], v[14:15], -v[70:71]
	s_delay_alu instid0(VALU_DEP_2) | instskip(NEXT) | instid1(VALU_DEP_1)
	v_fmaak_f64 v[2:3], v[38:39], v[2:3], 0x3fbe25e43abe935a
	v_fmaak_f64 v[2:3], v[38:39], v[2:3], 0x3fc110ef47e6c9c2
	s_delay_alu instid0(VALU_DEP_1) | instskip(NEXT) | instid1(VALU_DEP_1)
	v_fmaak_f64 v[2:3], v[38:39], v[2:3], 0x3fc3b13bcfa74449
	v_fmaak_f64 v[2:3], v[38:39], v[2:3], 0x3fc745d171bf3c30
	v_fmac_f64_e32 v[76:77], v[38:39], v[12:13]
	s_delay_alu instid0(VALU_DEP_2) | instskip(NEXT) | instid1(VALU_DEP_1)
	v_fmaak_f64 v[2:3], v[38:39], v[2:3], 0x3fcc71c71c7792ce
	v_fmaak_f64 v[2:3], v[38:39], v[2:3], 0x3fd24924924920da
	s_delay_alu instid0(VALU_DEP_1) | instskip(SKIP_2) | instid1(VALU_DEP_2)
	v_fmaak_f64 v[66:67], v[38:39], v[2:3], 0x3fd999999999999c
	v_cvt_f64_i32_e32 v[2:3], v10
	v_fmac_f64_e32 v[76:77], v[46:47], v[14:15]
	v_mul_f64_e32 v[6:7], 0x3fe62e42fefa39ef, v[2:3]
	s_delay_alu instid0(VALU_DEP_1) | instskip(SKIP_1) | instid1(VALU_DEP_1)
	v_fma_f64 v[4:5], v[2:3], s[0:1], -v[6:7]
	s_mov_b64 s[0:1], 0x3e5ade156a5dcb37
	v_fmamk_f64 v[2:3], v[2:3], 0x3c7abc9e3b39803f, v[4:5]
	s_delay_alu instid0(VALU_DEP_1) | instskip(NEXT) | instid1(VALU_DEP_1)
	v_add_f64_e32 v[4:5], v[6:7], v[2:3]
	v_add_f64_e64 v[6:7], v[4:5], -v[6:7]
	s_delay_alu instid0(VALU_DEP_1) | instskip(SKIP_2) | instid1(VALU_DEP_1)
	v_add_f64_e64 v[2:3], v[2:3], -v[6:7]
	v_ldexp_f64 v[6:7], v[12:13], 1
	v_add_f64_e32 v[12:13], v[70:71], v[76:77]
	v_add_f64_e64 v[14:15], v[12:13], -v[70:71]
	v_mul_f64_e32 v[70:71], v[38:39], v[66:67]
	s_delay_alu instid0(VALU_DEP_2) | instskip(NEXT) | instid1(VALU_DEP_2)
	v_add_f64_e64 v[14:15], v[76:77], -v[14:15]
	v_fma_f64 v[38:39], v[38:39], v[66:67], -v[70:71]
	s_delay_alu instid0(VALU_DEP_1) | instskip(NEXT) | instid1(VALU_DEP_1)
	v_fmac_f64_e32 v[38:39], v[46:47], v[66:67]
	v_add_f64_e32 v[46:47], v[70:71], v[38:39]
	s_delay_alu instid0(VALU_DEP_1) | instskip(NEXT) | instid1(VALU_DEP_1)
	v_add_f64_e64 v[66:67], v[46:47], -v[70:71]
	v_add_f64_e64 v[38:39], v[38:39], -v[66:67]
	v_add_f64_e32 v[66:67], 0x3fe5555555555555, v[46:47]
	s_delay_alu instid0(VALU_DEP_2) | instskip(NEXT) | instid1(VALU_DEP_2)
	v_add_f64_e32 v[38:39], 0x3c8543b0d5df274d, v[38:39]
	v_add_f64_e32 v[70:71], 0xbfe5555555555555, v[66:67]
	s_delay_alu instid0(VALU_DEP_1) | instskip(NEXT) | instid1(VALU_DEP_1)
	v_add_f64_e64 v[46:47], v[46:47], -v[70:71]
	v_add_f64_e32 v[38:39], v[38:39], v[46:47]
	s_delay_alu instid0(VALU_DEP_1) | instskip(NEXT) | instid1(VALU_DEP_1)
	v_add_f64_e32 v[46:47], v[66:67], v[38:39]
	v_add_f64_e64 v[66:67], v[66:67], -v[46:47]
	s_delay_alu instid0(VALU_DEP_1) | instskip(SKIP_1) | instid1(VALU_DEP_1)
	v_add_f64_e32 v[38:39], v[38:39], v[66:67]
	v_mul_f64_e32 v[66:67], v[12:13], v[46:47]
	v_fma_f64 v[70:71], v[12:13], v[46:47], -v[66:67]
	s_delay_alu instid0(VALU_DEP_1) | instskip(NEXT) | instid1(VALU_DEP_1)
	v_fmac_f64_e32 v[70:71], v[12:13], v[38:39]
	v_fmac_f64_e32 v[70:71], v[14:15], v[46:47]
	s_delay_alu instid0(VALU_DEP_1) | instskip(NEXT) | instid1(VALU_DEP_1)
	v_add_f64_e32 v[12:13], v[66:67], v[70:71]
	v_add_f64_e64 v[14:15], v[12:13], -v[66:67]
	v_add_f64_e32 v[38:39], v[8:9], v[12:13]
	s_delay_alu instid0(VALU_DEP_2) | instskip(NEXT) | instid1(VALU_DEP_2)
	v_add_f64_e64 v[14:15], v[70:71], -v[14:15]
	v_add_f64_e64 v[8:9], v[38:39], -v[8:9]
	s_delay_alu instid0(VALU_DEP_2) | instskip(NEXT) | instid1(VALU_DEP_2)
	v_add_f64_e32 v[6:7], v[6:7], v[14:15]
	v_add_f64_e64 v[8:9], v[12:13], -v[8:9]
	s_delay_alu instid0(VALU_DEP_1) | instskip(NEXT) | instid1(VALU_DEP_1)
	v_add_f64_e32 v[6:7], v[6:7], v[8:9]
	v_add_f64_e32 v[8:9], v[38:39], v[6:7]
	s_delay_alu instid0(VALU_DEP_1) | instskip(NEXT) | instid1(VALU_DEP_1)
	v_add_f64_e64 v[12:13], v[8:9], -v[38:39]
	v_add_f64_e64 v[6:7], v[6:7], -v[12:13]
	v_add_f64_e32 v[12:13], v[4:5], v[8:9]
	s_delay_alu instid0(VALU_DEP_1) | instskip(NEXT) | instid1(VALU_DEP_1)
	v_add_f64_e64 v[14:15], v[12:13], -v[4:5]
	v_add_f64_e64 v[38:39], v[12:13], -v[14:15]
	v_add_f64_e64 v[8:9], v[8:9], -v[14:15]
	s_delay_alu instid0(VALU_DEP_2) | instskip(NEXT) | instid1(VALU_DEP_1)
	v_add_f64_e64 v[4:5], v[4:5], -v[38:39]
	v_add_f64_e32 v[4:5], v[8:9], v[4:5]
	v_add_f64_e32 v[8:9], v[2:3], v[6:7]
	s_delay_alu instid0(VALU_DEP_1) | instskip(NEXT) | instid1(VALU_DEP_3)
	v_add_f64_e64 v[14:15], v[8:9], -v[2:3]
	v_add_f64_e32 v[4:5], v[8:9], v[4:5]
	s_delay_alu instid0(VALU_DEP_2) | instskip(SKIP_1) | instid1(VALU_DEP_2)
	v_add_f64_e64 v[38:39], v[8:9], -v[14:15]
	v_add_f64_e64 v[6:7], v[6:7], -v[14:15]
	v_add_f64_e64 v[2:3], v[2:3], -v[38:39]
                                        ; implicit-def: $vgpr38_vgpr39
	s_delay_alu instid0(VALU_DEP_1) | instskip(SKIP_1) | instid1(VALU_DEP_1)
	v_add_f64_e32 v[2:3], v[6:7], v[2:3]
	v_add_f64_e32 v[6:7], v[12:13], v[4:5]
	v_add_f64_e64 v[8:9], v[6:7], -v[12:13]
	s_delay_alu instid0(VALU_DEP_1) | instskip(NEXT) | instid1(VALU_DEP_1)
	v_add_f64_e64 v[4:5], v[4:5], -v[8:9]
	v_add_f64_e32 v[2:3], v[2:3], v[4:5]
	s_delay_alu instid0(VALU_DEP_1) | instskip(NEXT) | instid1(VALU_DEP_1)
	v_add_f64_e32 v[4:5], v[6:7], v[2:3]
	v_add_f64_e64 v[6:7], v[4:5], -v[6:7]
	s_delay_alu instid0(VALU_DEP_1) | instskip(SKIP_1) | instid1(VALU_DEP_1)
	v_add_f64_e64 v[2:3], v[2:3], -v[6:7]
	v_mul_f64_e32 v[6:7], v[32:33], v[4:5]
	v_fma_f64 v[4:5], v[32:33], v[4:5], -v[6:7]
	v_cmp_class_f64_e64 vcc_lo, v[6:7], 0x204
	s_delay_alu instid0(VALU_DEP_2) | instskip(NEXT) | instid1(VALU_DEP_1)
	v_fmac_f64_e32 v[4:5], v[32:33], v[2:3]
	v_add_f64_e32 v[2:3], v[6:7], v[4:5]
	s_delay_alu instid0(VALU_DEP_1) | instskip(SKIP_1) | instid1(VALU_DEP_1)
	v_add_f64_e64 v[8:9], v[2:3], -v[6:7]
	v_dual_cndmask_b32 v3, v3, v7 :: v_dual_cndmask_b32 v2, v2, v6
	v_mul_f64_e32 v[6:7], 0x3ff71547652b82fe, v[2:3]
	v_cmp_neq_f64_e64 vcc_lo, 0x7ff00000, |v[2:3]|
	s_delay_alu instid0(VALU_DEP_4) | instskip(NEXT) | instid1(VALU_DEP_3)
	v_add_f64_e64 v[4:5], v[4:5], -v[8:9]
	v_rndne_f64_e32 v[6:7], v[6:7]
	s_delay_alu instid0(VALU_DEP_2) | instskip(SKIP_1) | instid1(VALU_DEP_3)
	v_dual_cndmask_b32 v5, 0, v5 :: v_dual_cndmask_b32 v4, 0, v4
	v_cmp_nlt_f64_e32 vcc_lo, 0x40900000, v[2:3]
	v_fmamk_f64 v[8:9], v[6:7], 0xbfe62e42fefa39ef, v[2:3]
	s_delay_alu instid0(VALU_DEP_1) | instskip(SKIP_1) | instid1(VALU_DEP_2)
	v_fmamk_f64 v[8:9], v[6:7], 0xbc7abc9e3b39803f, v[8:9]
	v_cvt_i32_f64_e32 v6, v[6:7]
	v_fmaak_f64 v[12:13], s[0:1], v[8:9], 0x3e928af3fca7ab0c
	v_cmp_ngt_f64_e64 s0, 0xc090cc00, v[2:3]
	v_cmp_gt_f64_e64 s1, 0, v[56:57]
	s_delay_alu instid0(VALU_DEP_3) | instskip(NEXT) | instid1(VALU_DEP_1)
	v_fmaak_f64 v[12:13], v[8:9], v[12:13], 0x3ec71dee623fde64
	v_fmaak_f64 v[12:13], v[8:9], v[12:13], 0x3efa01997c89e6b0
	s_delay_alu instid0(VALU_DEP_1) | instskip(NEXT) | instid1(VALU_DEP_1)
	v_fmaak_f64 v[12:13], v[8:9], v[12:13], 0x3f2a01a014761f6e
	v_fmaak_f64 v[12:13], v[8:9], v[12:13], 0x3f56c16c1852b7b0
	s_delay_alu instid0(VALU_DEP_1) | instskip(NEXT) | instid1(VALU_DEP_1)
	;; [unrolled: 3-line block ×4, first 2 shown]
	v_fma_f64 v[12:13], v[8:9], v[12:13], 1.0
	v_fma_f64 v[8:9], v[8:9], v[12:13], 1.0
	s_delay_alu instid0(VALU_DEP_1) | instskip(NEXT) | instid1(VALU_DEP_1)
	v_ldexp_f64 v[6:7], v[8:9], v6
	v_cndmask_b32_e32 v7, 0x7ff00000, v7, vcc_lo
	s_and_b32 vcc_lo, s0, vcc_lo
	s_delay_alu instid0(VALU_DEP_1) | instid1(SALU_CYCLE_1)
	v_dual_cndmask_b32 v2, 0, v6, vcc_lo :: v_dual_cndmask_b32 v3, 0, v7, s0
	s_delay_alu instid0(VALU_DEP_1) | instskip(SKIP_1) | instid1(VALU_DEP_2)
	v_fma_f64 v[4:5], v[2:3], v[4:5], v[2:3]
	v_cmp_class_f64_e64 vcc_lo, v[2:3], 0x204
	v_dual_cndmask_b32 v6, v4, v2 :: v_dual_cndmask_b32 v7, v5, v3
	v_trunc_f64_e32 v[2:3], v[32:33]
	s_delay_alu instid0(VALU_DEP_1) | instskip(SKIP_1) | instid1(VALU_DEP_1)
	v_cmp_eq_f64_e32 vcc_lo, v[2:3], v[32:33]
	v_mul_f64_e32 v[2:3], 0.5, v[32:33]
	v_trunc_f64_e32 v[4:5], v[2:3]
	s_delay_alu instid0(VALU_DEP_1) | instskip(SKIP_1) | instid1(VALU_DEP_1)
	v_cmp_neq_f64_e64 s0, v[4:5], v[2:3]
	v_cndmask_b32_e32 v4, 0, v6, vcc_lo
	v_cndmask_b32_e64 v4, v6, v4, s1
	s_and_b32 s0, vcc_lo, s0
	s_delay_alu instid0(SALU_CYCLE_1) | instskip(SKIP_1) | instid1(VALU_DEP_2)
	v_cndmask_b32_e64 v2, 0x3ff00000, v57, s0
	v_cndmask_b32_e64 v5, 0, v57, s0
	v_bfi_b32 v2, 0x7fffffff, v7, v2
	s_delay_alu instid0(VALU_DEP_1) | instskip(SKIP_1) | instid1(VALU_DEP_2)
	v_cndmask_b32_e32 v3, 0x7ff80000, v2, vcc_lo
	v_cmp_eq_f64_e32 vcc_lo, 0, v[56:57]
	v_cndmask_b32_e64 v2, v2, v3, s1
	v_cmp_class_f64_e64 s1, v[56:57], 0x204
	v_cndmask_b32_e64 v3, 0x7ff00000, 0, vcc_lo
	s_or_b32 s1, vcc_lo, s1
	v_cmp_o_f64_e32 vcc_lo, v[56:57], v[56:57]
	s_delay_alu instid0(VALU_DEP_2) | instskip(NEXT) | instid1(VALU_DEP_1)
	v_bfi_b32 v3, 0x7fffffff, v3, v5
	v_cndmask_b32_e64 v3, v2, v3, s1
	v_cndmask_b32_e64 v2, v4, 0, s1
	s_mov_b64 s[0:1], 0x3e45798ee2308c3a
	s_delay_alu instid0(VALU_DEP_1) | instskip(NEXT) | instid1(VALU_DEP_3)
	v_cndmask_b32_e32 v2, 0, v2, vcc_lo
	v_cndmask_b32_e32 v3, 0x7ff80000, v3, vcc_lo
	s_delay_alu instid0(VALU_DEP_1) | instskip(NEXT) | instid1(VALU_DEP_1)
	v_mul_f64_e32 v[2:3], v[114:115], v[2:3]
	v_mul_f64_e32 v[4:5], v[54:55], v[2:3]
	;; [unrolled: 1-line block ×3, first 2 shown]
	s_delay_alu instid0(VALU_DEP_1) | instskip(NEXT) | instid1(VALU_DEP_1)
	v_div_scale_f64 v[8:9], null, v[2:3], v[2:3], v[4:5]
	v_rcp_f64_e32 v[6:7], v[8:9]
	v_nop
	s_delay_alu instid0(TRANS32_DEP_1) | instskip(NEXT) | instid1(VALU_DEP_1)
	v_fma_f64 v[12:13], -v[8:9], v[6:7], 1.0
	v_fmac_f64_e32 v[6:7], v[6:7], v[12:13]
	s_delay_alu instid0(VALU_DEP_1) | instskip(NEXT) | instid1(VALU_DEP_1)
	v_fma_f64 v[12:13], -v[8:9], v[6:7], 1.0
	v_fmac_f64_e32 v[6:7], v[6:7], v[12:13]
	v_div_scale_f64 v[12:13], vcc_lo, v[4:5], v[2:3], v[4:5]
	s_delay_alu instid0(VALU_DEP_1) | instskip(NEXT) | instid1(VALU_DEP_1)
	v_mul_f64_e32 v[14:15], v[12:13], v[6:7]
	v_fma_f64 v[8:9], -v[8:9], v[14:15], v[12:13]
	s_delay_alu instid0(VALU_DEP_1) | instskip(NEXT) | instid1(VALU_DEP_1)
	v_div_fmas_f64 v[6:7], v[8:9], v[6:7], v[14:15]
	v_div_fixup_f64 v[4:5], v[6:7], v[2:3], v[4:5]
	s_delay_alu instid0(VALU_DEP_1) | instskip(SKIP_1) | instid1(VALU_DEP_2)
	v_add_f64_e64 v[6:7], v[20:21], -v[4:5]
	v_mul_f64_e32 v[4:5], v[16:17], v[30:31]
	v_mul_f64_e32 v[6:7], v[124:125], v[6:7]
	s_delay_alu instid0(VALU_DEP_1) | instskip(NEXT) | instid1(VALU_DEP_1)
	v_mul_f64_e32 v[6:7], v[68:69], v[6:7]
	v_fma_f64 v[8:9], v[60:61], v[6:7], v[4:5]
	s_delay_alu instid0(VALU_DEP_1) | instskip(NEXT) | instid1(VALU_DEP_1)
	v_add_f64_e64 v[8:9], -v[118:119], -v[8:9]
	v_fma_f64 v[6:7], -v[60:61], v[6:7], v[8:9]
	s_delay_alu instid0(VALU_DEP_1) | instskip(NEXT) | instid1(VALU_DEP_1)
	v_mul_f64_e32 v[6:7], v[42:43], v[6:7]
	v_fmac_f64_e32 v[6:7], v[62:63], v[58:59]
	s_delay_alu instid0(VALU_DEP_1) | instskip(SKIP_1) | instid1(SALU_CYCLE_1)
	v_cmp_ngt_f64_e64 s0, |v[6:7]|, s[0:1]
	s_and_saveexec_b32 s1, s0
	s_xor_b32 s0, exec_lo, s1
; %bb.66:
	v_mul_f64_e32 v[38:39], s[12:13], v[22:23]
                                        ; implicit-def: $vgpr6_vgpr7
                                        ; implicit-def: $vgpr22_vgpr23
; %bb.67:
	s_or_saveexec_b32 s1, s0
	v_dual_mul_f64 v[14:15], v[44:45], v[102:103] :: v_dual_ashrrev_i32 v93, 31, v92
	v_mul_f64_e32 v[30:31], v[124:125], v[30:31]
	v_lshl_add_u64 v[32:33], v[112:113], 3, s[8:9]
	s_xor_b32 exec_lo, exec_lo, s1
	s_cbranch_execz .LBB0_69
; %bb.68:
	v_mul_f64_e32 v[8:9], s[12:13], v[6:7]
	s_mov_b64 s[2:3], 0x3e5ade156a5dcb37
	s_delay_alu instid0(VALU_DEP_1) | instskip(SKIP_2) | instid1(VALU_DEP_3)
	v_mul_f64_e32 v[12:13], 0x3ff71547652b82fe, v[8:9]
	v_cmp_nlt_f64_e32 vcc_lo, 0x40900000, v[8:9]
	v_cmp_ngt_f64_e64 s0, 0xc090cc00, v[8:9]
	v_rndne_f64_e32 v[12:13], v[12:13]
	s_delay_alu instid0(VALU_DEP_1) | instskip(SKIP_1) | instid1(VALU_DEP_2)
	v_fmamk_f64 v[20:21], v[12:13], 0xbfe62e42fefa39ef, v[8:9]
	v_cvt_i32_f64_e32 v10, v[12:13]
	v_fmamk_f64 v[20:21], v[12:13], 0xbc7abc9e3b39803f, v[20:21]
	s_delay_alu instid0(VALU_DEP_1) | instskip(NEXT) | instid1(VALU_DEP_1)
	v_fmaak_f64 v[38:39], s[2:3], v[20:21], 0x3e928af3fca7ab0c
	v_fmaak_f64 v[38:39], v[20:21], v[38:39], 0x3ec71dee623fde64
	s_delay_alu instid0(VALU_DEP_1) | instskip(NEXT) | instid1(VALU_DEP_1)
	v_fmaak_f64 v[38:39], v[20:21], v[38:39], 0x3efa01997c89e6b0
	v_fmaak_f64 v[38:39], v[20:21], v[38:39], 0x3f2a01a014761f6e
	s_delay_alu instid0(VALU_DEP_1) | instskip(NEXT) | instid1(VALU_DEP_1)
	v_fmaak_f64 v[38:39], v[20:21], v[38:39], 0x3f56c16c1852b7b0
	v_fmaak_f64 v[38:39], v[20:21], v[38:39], 0x3f81111111122322
	s_delay_alu instid0(VALU_DEP_1) | instskip(NEXT) | instid1(VALU_DEP_1)
	v_fmaak_f64 v[38:39], v[20:21], v[38:39], 0x3fa55555555502a1
	v_fmaak_f64 v[38:39], v[20:21], v[38:39], 0x3fc5555555555511
	s_delay_alu instid0(VALU_DEP_1) | instskip(NEXT) | instid1(VALU_DEP_1)
	v_fmaak_f64 v[38:39], v[20:21], v[38:39], 0x3fe000000000000b
	v_fma_f64 v[38:39], v[20:21], v[38:39], 1.0
	s_delay_alu instid0(VALU_DEP_1) | instskip(NEXT) | instid1(VALU_DEP_1)
	v_fma_f64 v[12:13], v[20:21], v[38:39], 1.0
	v_ldexp_f64 v[12:13], v[12:13], v10
	s_delay_alu instid0(VALU_DEP_1) | instskip(NEXT) | instid1(VALU_DEP_1)
	v_add_f64_e32 v[12:13], -1.0, v[12:13]
	v_cndmask_b32_e32 v10, 0x7ff00000, v13, vcc_lo
	s_and_b32 vcc_lo, s0, vcc_lo
	s_delay_alu instid0(VALU_DEP_2) | instskip(NEXT) | instid1(VALU_DEP_2)
	v_cndmask_b32_e32 v8, 0, v12, vcc_lo
	v_cndmask_b32_e64 v9, 0xbff00000, v10, s0
	s_delay_alu instid0(VALU_DEP_1) | instskip(NEXT) | instid1(VALU_DEP_1)
	v_mul_f64_e32 v[8:9], v[22:23], v[8:9]
	v_div_scale_f64 v[12:13], null, v[6:7], v[6:7], v[8:9]
	s_delay_alu instid0(VALU_DEP_1) | instskip(SKIP_1) | instid1(TRANS32_DEP_1)
	v_rcp_f64_e32 v[20:21], v[12:13]
	v_nop
	v_fma_f64 v[22:23], -v[12:13], v[20:21], 1.0
	s_delay_alu instid0(VALU_DEP_1) | instskip(NEXT) | instid1(VALU_DEP_1)
	v_fmac_f64_e32 v[20:21], v[20:21], v[22:23]
	v_fma_f64 v[22:23], -v[12:13], v[20:21], 1.0
	s_delay_alu instid0(VALU_DEP_1) | instskip(SKIP_1) | instid1(VALU_DEP_1)
	v_fmac_f64_e32 v[20:21], v[20:21], v[22:23]
	v_div_scale_f64 v[22:23], vcc_lo, v[8:9], v[6:7], v[8:9]
	v_mul_f64_e32 v[38:39], v[22:23], v[20:21]
	s_delay_alu instid0(VALU_DEP_1) | instskip(NEXT) | instid1(VALU_DEP_1)
	v_fma_f64 v[12:13], -v[12:13], v[38:39], v[22:23]
	v_div_fmas_f64 v[12:13], v[12:13], v[20:21], v[38:39]
	s_delay_alu instid0(VALU_DEP_1)
	v_div_fixup_f64 v[38:39], v[12:13], v[6:7], v[8:9]
.LBB0_69:
	s_or_b32 exec_lo, exec_lo, s1
	s_clause 0x4
	scratch_load_b64 v[72:73], off, off offset:288 th:TH_LOAD_LU
	scratch_load_b64 v[76:77], off, off offset:296 th:TH_LOAD_LU
	scratch_load_b64 v[70:71], off, off offset:152
	scratch_load_b64 v[16:17], off, off offset:24
	;; [unrolled: 1-line block ×3, first 2 shown]
	s_mov_b64 s[0:1], 0x3f847ae147ae147b
	v_mul_f64_e32 v[88:89], v[18:19], v[18:19]
	s_mov_b64 s[2:3], 0x3e5ade156a5dcb37
	v_ldexp_f64 v[46:47], v[56:57], -2
	v_add_f64_e32 v[38:39], v[116:117], v[38:39]
	v_mul_f64_e32 v[30:31], v[104:105], v[30:31]
	v_mul_f64_e32 v[14:15], v[14:15], v[86:87]
	scratch_load_b64 v[40:41], off, off offset:32 ; 8-byte Folded Reload
	global_store_b64 v[32:33], v[38:39], off
	s_wait_xcnt 0x0
	v_div_scale_f64 v[32:33], null, v[100:101], v[100:101], v[30:31]
	s_delay_alu instid0(VALU_DEP_1) | instskip(SKIP_3) | instid1(VALU_DEP_2)
	v_rcp_f64_e32 v[38:39], v[32:33]
	s_wait_loadcnt 0x4
	v_add_f64_e32 v[6:7], v[56:57], v[76:77]
	v_mul_f64_e32 v[12:13], v[72:73], v[76:77]
	v_mul_f64_e32 v[8:9], v[6:7], v[6:7]
	s_delay_alu instid0(VALU_DEP_1) | instskip(NEXT) | instid1(VALU_DEP_1)
	v_div_scale_f64 v[20:21], null, v[8:9], v[8:9], v[12:13]
	v_rcp_f64_e32 v[22:23], v[20:21]
	v_nop
	s_delay_alu instid0(TRANS32_DEP_1) | instskip(NEXT) | instid1(VALU_DEP_1)
	v_fma_f64 v[42:43], -v[20:21], v[22:23], 1.0
	v_fmac_f64_e32 v[22:23], v[22:23], v[42:43]
	s_delay_alu instid0(VALU_DEP_1) | instskip(NEXT) | instid1(VALU_DEP_1)
	v_fma_f64 v[42:43], -v[20:21], v[22:23], 1.0
	v_fmac_f64_e32 v[22:23], v[22:23], v[42:43]
	v_div_scale_f64 v[42:43], vcc_lo, v[12:13], v[8:9], v[12:13]
	s_delay_alu instid0(VALU_DEP_1) | instskip(NEXT) | instid1(VALU_DEP_1)
	v_mul_f64_e32 v[44:45], v[42:43], v[22:23]
	v_fma_f64 v[20:21], -v[20:21], v[44:45], v[42:43]
	s_delay_alu instid0(VALU_DEP_1) | instskip(NEXT) | instid1(VALU_DEP_1)
	v_div_fmas_f64 v[20:21], v[20:21], v[22:23], v[44:45]
	v_div_fixup_f64 v[12:13], v[20:21], v[8:9], v[12:13]
	s_delay_alu instid0(VALU_DEP_1) | instskip(NEXT) | instid1(VALU_DEP_1)
	v_add_f64_e32 v[12:13], 1.0, v[12:13]
	v_div_scale_f64 v[20:21], null, v[12:13], v[12:13], 1.0
	s_delay_alu instid0(VALU_DEP_1) | instskip(SKIP_1) | instid1(TRANS32_DEP_1)
	v_rcp_f64_e32 v[22:23], v[20:21]
	v_nop
	v_fma_f64 v[42:43], -v[20:21], v[22:23], 1.0
	s_delay_alu instid0(VALU_DEP_1) | instskip(NEXT) | instid1(VALU_DEP_1)
	v_fmac_f64_e32 v[22:23], v[22:23], v[42:43]
	v_fma_f64 v[42:43], -v[20:21], v[22:23], 1.0
	s_delay_alu instid0(VALU_DEP_1) | instskip(SKIP_1) | instid1(VALU_DEP_1)
	v_fmac_f64_e32 v[22:23], v[22:23], v[42:43]
	v_div_scale_f64 v[42:43], vcc_lo, 1.0, v[12:13], 1.0
	v_mul_f64_e32 v[44:45], v[42:43], v[22:23]
	s_delay_alu instid0(VALU_DEP_1) | instskip(SKIP_2) | instid1(VALU_DEP_2)
	v_fma_f64 v[20:21], -v[20:21], v[44:45], v[42:43]
	s_wait_loadcnt 0x3
	v_mul_f64_e32 v[42:43], 4.0, v[70:71]
	v_div_fmas_f64 v[20:21], v[20:21], v[22:23], v[44:45]
	v_add_f64_e32 v[22:23], 0xc02e0000, v[0:1]
	s_delay_alu instid0(VALU_DEP_3) | instskip(NEXT) | instid1(VALU_DEP_3)
	v_mul_f64_e32 v[44:45], v[42:43], v[88:89]
	v_div_fixup_f64 v[20:21], v[20:21], v[12:13], 1.0
	s_delay_alu instid0(VALU_DEP_3) | instskip(SKIP_1) | instid1(VALU_DEP_2)
	v_cmp_lt_f64_e64 s1, |v[22:23]|, s[0:1]
	v_mul_f64_e32 v[12:13], v[12:13], v[12:13]
	v_cndmask_b32_e64 v23, v23, 0x3f847ae1, s1
	v_cndmask_b32_e64 v22, v22, 0x47ae147b, s1
	s_delay_alu instid0(VALU_DEP_1) | instskip(NEXT) | instid1(VALU_DEP_1)
	v_mul_f64_e32 v[42:43], v[22:23], v[28:29]
	v_div_scale_f64 v[58:59], null, v[98:99], v[98:99], v[42:43]
	s_delay_alu instid0(VALU_DEP_1) | instskip(SKIP_1) | instid1(TRANS32_DEP_1)
	v_rcp_f64_e32 v[60:61], v[58:59]
	v_nop
	v_fma_f64 v[62:63], -v[58:59], v[60:61], 1.0
	s_delay_alu instid0(VALU_DEP_1) | instskip(NEXT) | instid1(VALU_DEP_1)
	v_fmac_f64_e32 v[60:61], v[60:61], v[62:63]
	v_fma_f64 v[62:63], -v[58:59], v[60:61], 1.0
	s_delay_alu instid0(VALU_DEP_1) | instskip(SKIP_1) | instid1(VALU_DEP_1)
	v_fmac_f64_e32 v[60:61], v[60:61], v[62:63]
	v_div_scale_f64 v[62:63], vcc_lo, v[42:43], v[98:99], v[42:43]
	v_mul_f64_e32 v[66:67], v[62:63], v[60:61]
	s_delay_alu instid0(VALU_DEP_1) | instskip(NEXT) | instid1(VALU_DEP_1)
	v_fma_f64 v[58:59], -v[58:59], v[66:67], v[62:63]
	v_div_fmas_f64 v[58:59], v[58:59], v[60:61], v[66:67]
	s_delay_alu instid0(VALU_DEP_1) | instskip(NEXT) | instid1(VALU_DEP_1)
	v_div_fixup_f64 v[42:43], v[58:59], v[98:99], v[42:43]
	v_mul_f64_e32 v[58:59], 0x3ff71547652b82fe, v[42:43]
	v_cmp_nlt_f64_e32 vcc_lo, 0x40900000, v[42:43]
	v_cmp_ngt_f64_e64 s0, 0xc090cc00, v[42:43]
	s_delay_alu instid0(VALU_DEP_3) | instskip(NEXT) | instid1(VALU_DEP_1)
	v_rndne_f64_e32 v[58:59], v[58:59]
	v_fmamk_f64 v[60:61], v[58:59], 0xbfe62e42fefa39ef, v[42:43]
	v_cvt_i32_f64_e32 v10, v[58:59]
	s_delay_alu instid0(VALU_DEP_2) | instskip(NEXT) | instid1(VALU_DEP_1)
	v_fmamk_f64 v[60:61], v[58:59], 0xbc7abc9e3b39803f, v[60:61]
	v_fmaak_f64 v[62:63], s[2:3], v[60:61], 0x3e928af3fca7ab0c
	s_mov_b64 s[2:3], 0x3e45798ee2308c3a
	s_delay_alu instid0(VALU_DEP_1) | instskip(NEXT) | instid1(VALU_DEP_1)
	v_fmaak_f64 v[62:63], v[60:61], v[62:63], 0x3ec71dee623fde64
	v_fmaak_f64 v[62:63], v[60:61], v[62:63], 0x3efa01997c89e6b0
	s_delay_alu instid0(VALU_DEP_1) | instskip(NEXT) | instid1(VALU_DEP_1)
	v_fmaak_f64 v[62:63], v[60:61], v[62:63], 0x3f2a01a014761f6e
	v_fmaak_f64 v[62:63], v[60:61], v[62:63], 0x3f56c16c1852b7b0
	s_delay_alu instid0(VALU_DEP_1) | instskip(NEXT) | instid1(VALU_DEP_1)
	v_fmaak_f64 v[62:63], v[60:61], v[62:63], 0x3f81111111122322
	v_fmaak_f64 v[62:63], v[60:61], v[62:63], 0x3fa55555555502a1
	s_delay_alu instid0(VALU_DEP_1) | instskip(NEXT) | instid1(VALU_DEP_1)
	v_fmaak_f64 v[62:63], v[60:61], v[62:63], 0x3fc5555555555511
	v_fmaak_f64 v[62:63], v[60:61], v[62:63], 0x3fe000000000000b
	s_delay_alu instid0(VALU_DEP_1) | instskip(NEXT) | instid1(VALU_DEP_1)
	v_fma_f64 v[62:63], v[60:61], v[62:63], 1.0
	v_fma_f64 v[60:61], v[60:61], v[62:63], 1.0
	s_delay_alu instid0(VALU_DEP_1) | instskip(NEXT) | instid1(VALU_DEP_1)
	v_ldexp_f64 v[58:59], v[60:61], v10
	v_cndmask_b32_e32 v10, 0x7ff00000, v59, vcc_lo
	s_and_b32 vcc_lo, s0, vcc_lo
	s_delay_alu instid0(VALU_DEP_2) | instskip(NEXT) | instid1(VALU_DEP_2)
	v_cndmask_b32_e32 v42, 0, v58, vcc_lo
	v_cndmask_b32_e64 v43, 0, v10, s0
	scratch_load_b64 v[10:11], off, off offset:16 ; 8-byte Folded Reload
	v_mul_f64_e32 v[6:7], v[6:7], v[8:9]
	v_add_f64_e32 v[62:63], -1.0, v[42:43]
	s_delay_alu instid0(VALU_DEP_2) | instskip(NEXT) | instid1(VALU_DEP_2)
	v_mul_f64_e32 v[6:7], v[6:7], v[12:13]
	v_mul_f64_e32 v[112:113], v[98:99], v[62:63]
	s_wait_loadcnt 0x0
	v_fma_f64 v[10:11], v[46:47], v[42:43], -v[10:11]
	scratch_store_b64 off, v[10:11], off offset:304 ; 8-byte Folded Spill
	s_wait_xcnt 0x0
	v_mul_f64_e32 v[10:11], v[44:45], v[10:11]
	s_delay_alu instid0(VALU_DEP_1) | instskip(SKIP_4) | instid1(VALU_DEP_1)
	v_mul_f64_e32 v[44:45], v[22:23], v[10:11]
	s_clause 0x1
	scratch_store_b64 off, v[10:11], off offset:312
	scratch_load_b64 v[10:11], off, off
	v_mul_f64_e32 v[44:45], v[16:17], v[44:45]
	v_mul_f64_e32 v[44:45], v[78:79], v[44:45]
	s_delay_alu instid0(VALU_DEP_1) | instskip(NEXT) | instid1(VALU_DEP_1)
	v_mul_f64_e32 v[44:45], v[40:41], v[44:45]
	v_mul_f64_e32 v[44:45], v[68:69], v[44:45]
	s_delay_alu instid0(VALU_DEP_1) | instskip(NEXT) | instid1(VALU_DEP_1)
	v_div_scale_f64 v[46:47], null, v[112:113], v[112:113], v[44:45]
	v_rcp_f64_e32 v[58:59], v[46:47]
	v_nop
	s_delay_alu instid0(TRANS32_DEP_1) | instskip(NEXT) | instid1(VALU_DEP_1)
	v_fma_f64 v[60:61], -v[46:47], v[58:59], 1.0
	v_fmac_f64_e32 v[58:59], v[58:59], v[60:61]
	s_delay_alu instid0(VALU_DEP_1) | instskip(NEXT) | instid1(VALU_DEP_1)
	v_fma_f64 v[60:61], -v[46:47], v[58:59], 1.0
	v_fmac_f64_e32 v[58:59], v[58:59], v[60:61]
	v_div_scale_f64 v[60:61], vcc_lo, v[44:45], v[112:113], v[44:45]
	s_delay_alu instid0(VALU_DEP_1) | instskip(NEXT) | instid1(VALU_DEP_1)
	v_mul_f64_e32 v[66:67], v[60:61], v[58:59]
	v_fma_f64 v[46:47], -v[46:47], v[66:67], v[60:61]
	s_delay_alu instid0(VALU_DEP_1) | instskip(NEXT) | instid1(VALU_DEP_1)
	v_div_fmas_f64 v[46:47], v[46:47], v[58:59], v[66:67]
	v_div_fixup_f64 v[122:123], v[46:47], v[112:113], v[44:45]
	v_fma_f64 v[44:45], -v[32:33], v[38:39], 1.0
	s_delay_alu instid0(VALU_DEP_1) | instskip(NEXT) | instid1(VALU_DEP_1)
	v_fmac_f64_e32 v[38:39], v[38:39], v[44:45]
	v_fma_f64 v[44:45], -v[32:33], v[38:39], 1.0
	s_delay_alu instid0(VALU_DEP_1) | instskip(SKIP_1) | instid1(VALU_DEP_1)
	v_fmac_f64_e32 v[38:39], v[38:39], v[44:45]
	v_div_scale_f64 v[44:45], vcc_lo, v[30:31], v[100:101], v[30:31]
	v_mul_f64_e32 v[46:47], v[44:45], v[38:39]
	s_delay_alu instid0(VALU_DEP_1) | instskip(NEXT) | instid1(VALU_DEP_1)
	v_fma_f64 v[32:33], -v[32:33], v[46:47], v[44:45]
	v_div_fmas_f64 v[32:33], v[32:33], v[38:39], v[46:47]
	s_delay_alu instid0(VALU_DEP_1) | instskip(SKIP_1) | instid1(VALU_DEP_1)
	v_div_fixup_f64 v[30:31], v[32:33], v[100:101], v[30:31]
	v_div_scale_f64 v[32:33], null, v[100:101], v[100:101], v[14:15]
	v_rcp_f64_e32 v[38:39], v[32:33]
	v_nop
	s_delay_alu instid0(TRANS32_DEP_1) | instskip(NEXT) | instid1(VALU_DEP_1)
	v_fma_f64 v[44:45], -v[32:33], v[38:39], 1.0
	v_fmac_f64_e32 v[38:39], v[38:39], v[44:45]
	s_delay_alu instid0(VALU_DEP_1) | instskip(NEXT) | instid1(VALU_DEP_1)
	v_fma_f64 v[44:45], -v[32:33], v[38:39], 1.0
	v_fmac_f64_e32 v[38:39], v[38:39], v[44:45]
	v_div_scale_f64 v[44:45], vcc_lo, v[14:15], v[100:101], v[14:15]
	s_delay_alu instid0(VALU_DEP_1) | instskip(NEXT) | instid1(VALU_DEP_1)
	v_mul_f64_e32 v[46:47], v[44:45], v[38:39]
	v_fma_f64 v[32:33], -v[32:33], v[46:47], v[44:45]
	s_delay_alu instid0(VALU_DEP_1) | instskip(NEXT) | instid1(VALU_DEP_1)
	v_div_fmas_f64 v[32:33], v[32:33], v[38:39], v[46:47]
	v_div_fixup_f64 v[14:15], v[32:33], v[100:101], v[14:15]
	v_mul_f64_e32 v[32:33], v[100:101], v[28:29]
	s_delay_alu instid0(VALU_DEP_2) | instskip(SKIP_2) | instid1(VALU_DEP_1)
	v_add_f64_e64 v[14:15], v[30:31], -v[14:15]
	s_wait_loadcnt 0x0
	v_mul_f64_e32 v[30:31], v[10:11], v[122:123]
	v_div_scale_f64 v[28:29], null, v[32:33], v[32:33], v[30:31]
	s_delay_alu instid0(VALU_DEP_1) | instskip(SKIP_1) | instid1(TRANS32_DEP_1)
	v_rcp_f64_e32 v[38:39], v[28:29]
	v_nop
	v_fma_f64 v[44:45], -v[28:29], v[38:39], 1.0
	s_delay_alu instid0(VALU_DEP_1) | instskip(NEXT) | instid1(VALU_DEP_1)
	v_fmac_f64_e32 v[38:39], v[38:39], v[44:45]
	v_fma_f64 v[44:45], -v[28:29], v[38:39], 1.0
	s_delay_alu instid0(VALU_DEP_1) | instskip(SKIP_1) | instid1(VALU_DEP_1)
	v_fmac_f64_e32 v[38:39], v[38:39], v[44:45]
	v_div_scale_f64 v[44:45], vcc_lo, v[30:31], v[32:33], v[30:31]
	v_mul_f64_e32 v[46:47], v[44:45], v[38:39]
	s_delay_alu instid0(VALU_DEP_1) | instskip(NEXT) | instid1(VALU_DEP_1)
	v_fma_f64 v[28:29], -v[28:29], v[46:47], v[44:45]
	v_div_fmas_f64 v[28:29], v[28:29], v[38:39], v[46:47]
	s_delay_alu instid0(VALU_DEP_1) | instskip(SKIP_1) | instid1(VALU_DEP_2)
	v_div_fixup_f64 v[28:29], v[28:29], v[32:33], v[30:31]
	v_mul_f64_e32 v[30:31], v[54:55], v[54:55]
	v_add_f64_e64 v[38:39], v[14:15], -v[28:29]
	v_mul_f64_e32 v[14:15], v[56:57], v[94:95]
	s_delay_alu instid0(VALU_DEP_2) | instskip(NEXT) | instid1(VALU_DEP_2)
	v_mul_f64_e32 v[28:29], v[20:21], v[38:39]
	v_add_f64_e32 v[14:15], v[14:15], v[14:15]
	s_delay_alu instid0(VALU_DEP_1) | instskip(NEXT) | instid1(VALU_DEP_1)
	v_mul_f64_e32 v[14:15], v[14:15], v[30:31]
	v_mul_f64_e32 v[14:15], v[114:115], v[14:15]
	s_delay_alu instid0(VALU_DEP_1) | instskip(NEXT) | instid1(VALU_DEP_1)
	v_div_scale_f64 v[30:31], null, v[2:3], v[2:3], v[14:15]
	v_rcp_f64_e32 v[44:45], v[30:31]
	v_nop
	s_delay_alu instid0(TRANS32_DEP_1) | instskip(NEXT) | instid1(VALU_DEP_1)
	v_fma_f64 v[46:47], -v[30:31], v[44:45], 1.0
	v_fmac_f64_e32 v[44:45], v[44:45], v[46:47]
	s_delay_alu instid0(VALU_DEP_1) | instskip(NEXT) | instid1(VALU_DEP_1)
	v_fma_f64 v[46:47], -v[30:31], v[44:45], 1.0
	v_fmac_f64_e32 v[44:45], v[44:45], v[46:47]
	v_div_scale_f64 v[46:47], vcc_lo, v[14:15], v[2:3], v[14:15]
	s_delay_alu instid0(VALU_DEP_1) | instskip(NEXT) | instid1(VALU_DEP_1)
	v_mul_f64_e32 v[58:59], v[46:47], v[44:45]
	v_fma_f64 v[30:31], -v[30:31], v[58:59], v[46:47]
	s_delay_alu instid0(VALU_DEP_1) | instskip(NEXT) | instid1(VALU_DEP_1)
	v_div_fmas_f64 v[30:31], v[30:31], v[44:45], v[58:59]
	v_div_fixup_f64 v[2:3], v[30:31], v[2:3], v[14:15]
	v_add_f64_e32 v[14:15], v[56:57], v[56:57]
	s_delay_alu instid0(VALU_DEP_1) | instskip(NEXT) | instid1(VALU_DEP_1)
	v_mul_f64_e32 v[14:15], v[114:115], v[14:15]
	v_mul_f64_e32 v[14:15], v[14:15], v[54:55]
	s_delay_alu instid0(VALU_DEP_1) | instskip(NEXT) | instid1(VALU_DEP_1)
	v_div_scale_f64 v[30:31], null, v[110:111], v[110:111], v[14:15]
	v_rcp_f64_e32 v[44:45], v[30:31]
	v_nop
	s_delay_alu instid0(TRANS32_DEP_1) | instskip(NEXT) | instid1(VALU_DEP_1)
	v_fma_f64 v[46:47], -v[30:31], v[44:45], 1.0
	v_fmac_f64_e32 v[44:45], v[44:45], v[46:47]
	s_delay_alu instid0(VALU_DEP_1) | instskip(NEXT) | instid1(VALU_DEP_1)
	v_fma_f64 v[46:47], -v[30:31], v[44:45], 1.0
	v_fmac_f64_e32 v[44:45], v[44:45], v[46:47]
	v_div_scale_f64 v[46:47], vcc_lo, v[14:15], v[110:111], v[14:15]
	s_delay_alu instid0(VALU_DEP_1) | instskip(NEXT) | instid1(VALU_DEP_1)
	v_mul_f64_e32 v[54:55], v[46:47], v[44:45]
	v_fma_f64 v[30:31], -v[30:31], v[54:55], v[46:47]
	s_delay_alu instid0(VALU_DEP_1) | instskip(NEXT) | instid1(VALU_DEP_1)
	v_div_fmas_f64 v[30:31], v[30:31], v[44:45], v[54:55]
                                        ; implicit-def: $vgpr54_vgpr55
	v_div_fixup_f64 v[14:15], v[30:31], v[110:111], v[14:15]
	s_delay_alu instid0(VALU_DEP_1) | instskip(SKIP_1) | instid1(VALU_DEP_2)
	v_add_f64_e64 v[14:15], v[14:15], -v[2:3]
	v_add_f64_e32 v[2:3], v[72:73], v[72:73]
	v_fma_f64 v[4:5], v[124:125], v[14:15], -v[4:5]
	s_delay_alu instid0(VALU_DEP_2) | instskip(NEXT) | instid1(VALU_DEP_2)
	v_mul_f64_e32 v[2:3], v[2:3], v[76:77]
	v_fmac_f64_e32 v[4:5], v[124:125], v[14:15]
	s_delay_alu instid0(VALU_DEP_2) | instskip(NEXT) | instid1(VALU_DEP_2)
	v_div_scale_f64 v[8:9], null, v[6:7], v[6:7], v[2:3]
	v_mul_f64_e32 v[4:5], v[104:105], v[4:5]
	s_delay_alu instid0(VALU_DEP_2) | instskip(SKIP_1) | instid1(TRANS32_DEP_1)
	v_rcp_f64_e32 v[12:13], v[8:9]
	v_nop
	v_fma_f64 v[30:31], -v[8:9], v[12:13], 1.0
	s_delay_alu instid0(VALU_DEP_1) | instskip(NEXT) | instid1(VALU_DEP_1)
	v_fmac_f64_e32 v[12:13], v[12:13], v[30:31]
	v_fma_f64 v[30:31], -v[8:9], v[12:13], 1.0
	s_delay_alu instid0(VALU_DEP_1) | instskip(SKIP_1) | instid1(VALU_DEP_1)
	v_fmac_f64_e32 v[12:13], v[12:13], v[30:31]
	v_div_scale_f64 v[30:31], vcc_lo, v[2:3], v[6:7], v[2:3]
	v_mul_f64_e32 v[44:45], v[30:31], v[12:13]
	s_delay_alu instid0(VALU_DEP_1) | instskip(NEXT) | instid1(VALU_DEP_1)
	v_fma_f64 v[8:9], -v[8:9], v[44:45], v[30:31]
	v_div_fmas_f64 v[8:9], v[8:9], v[12:13], v[44:45]
	s_delay_alu instid0(VALU_DEP_1) | instskip(SKIP_1) | instid1(VALU_DEP_2)
	v_div_fixup_f64 v[2:3], v[8:9], v[6:7], v[2:3]
	v_mul_f64_e32 v[6:7], v[70:71], v[88:89]
	v_mul_f64_e32 v[2:3], v[2:3], v[38:39]
	s_delay_alu instid0(VALU_DEP_2) | instskip(NEXT) | instid1(VALU_DEP_1)
	v_mul_f64_e32 v[6:7], v[22:23], v[6:7]
	v_mul_f64_e32 v[6:7], v[16:17], v[6:7]
	s_delay_alu instid0(VALU_DEP_1) | instskip(NEXT) | instid1(VALU_DEP_1)
	v_mul_f64_e32 v[6:7], v[6:7], v[42:43]
	v_mul_f64_e32 v[6:7], v[78:79], v[6:7]
	s_delay_alu instid0(VALU_DEP_1) | instskip(NEXT) | instid1(VALU_DEP_1)
	;; [unrolled: 3-line block ×3, first 2 shown]
	v_div_scale_f64 v[8:9], null, v[112:113], v[112:113], v[6:7]
	v_rcp_f64_e32 v[12:13], v[8:9]
	v_nop
	s_delay_alu instid0(TRANS32_DEP_1) | instskip(NEXT) | instid1(VALU_DEP_1)
	v_fma_f64 v[30:31], -v[8:9], v[12:13], 1.0
	v_fmac_f64_e32 v[12:13], v[12:13], v[30:31]
	s_delay_alu instid0(VALU_DEP_1) | instskip(NEXT) | instid1(VALU_DEP_1)
	v_fma_f64 v[30:31], -v[8:9], v[12:13], 1.0
	v_fmac_f64_e32 v[12:13], v[12:13], v[30:31]
	v_div_scale_f64 v[30:31], vcc_lo, v[6:7], v[112:113], v[6:7]
	s_delay_alu instid0(VALU_DEP_1) | instskip(NEXT) | instid1(VALU_DEP_1)
	v_mul_f64_e32 v[44:45], v[30:31], v[12:13]
	v_fma_f64 v[8:9], -v[8:9], v[44:45], v[30:31]
	s_delay_alu instid0(VALU_DEP_1) | instskip(NEXT) | instid1(VALU_DEP_1)
	v_div_fmas_f64 v[8:9], v[8:9], v[12:13], v[44:45]
	v_div_fixup_f64 v[6:7], v[8:9], v[112:113], v[6:7]
	v_div_scale_f64 v[8:9], null, v[100:101], v[100:101], v[4:5]
	s_delay_alu instid0(VALU_DEP_2) | instskip(NEXT) | instid1(VALU_DEP_2)
	v_mul_f64_e32 v[6:7], v[10:11], v[6:7]
	v_rcp_f64_e32 v[12:13], v[8:9]
	v_nop
	s_delay_alu instid0(TRANS32_DEP_1) | instskip(NEXT) | instid1(VALU_DEP_1)
	v_fma_f64 v[14:15], -v[8:9], v[12:13], 1.0
	v_fmac_f64_e32 v[12:13], v[12:13], v[14:15]
	s_delay_alu instid0(VALU_DEP_1) | instskip(NEXT) | instid1(VALU_DEP_1)
	v_fma_f64 v[14:15], -v[8:9], v[12:13], 1.0
	v_fmac_f64_e32 v[12:13], v[12:13], v[14:15]
	v_div_scale_f64 v[14:15], vcc_lo, v[4:5], v[100:101], v[4:5]
	s_delay_alu instid0(VALU_DEP_1) | instskip(NEXT) | instid1(VALU_DEP_1)
	v_mul_f64_e32 v[30:31], v[14:15], v[12:13]
	v_fma_f64 v[8:9], -v[8:9], v[30:31], v[14:15]
	s_delay_alu instid0(VALU_DEP_1) | instskip(NEXT) | instid1(VALU_DEP_1)
	v_div_fmas_f64 v[8:9], v[8:9], v[12:13], v[30:31]
	v_div_fixup_f64 v[4:5], v[8:9], v[100:101], v[4:5]
	v_mul_f64_e32 v[8:9], v[102:103], v[86:87]
	s_delay_alu instid0(VALU_DEP_1) | instskip(NEXT) | instid1(VALU_DEP_1)
	v_div_scale_f64 v[12:13], null, v[100:101], v[100:101], v[8:9]
	v_rcp_f64_e32 v[14:15], v[12:13]
	v_nop
	s_delay_alu instid0(TRANS32_DEP_1) | instskip(NEXT) | instid1(VALU_DEP_1)
	v_fma_f64 v[30:31], -v[12:13], v[14:15], 1.0
	v_fmac_f64_e32 v[14:15], v[14:15], v[30:31]
	s_delay_alu instid0(VALU_DEP_1) | instskip(NEXT) | instid1(VALU_DEP_1)
	v_fma_f64 v[30:31], -v[12:13], v[14:15], 1.0
	v_fmac_f64_e32 v[14:15], v[14:15], v[30:31]
	v_div_scale_f64 v[30:31], vcc_lo, v[8:9], v[100:101], v[8:9]
	s_delay_alu instid0(VALU_DEP_1) | instskip(NEXT) | instid1(VALU_DEP_1)
	v_mul_f64_e32 v[44:45], v[30:31], v[14:15]
	v_fma_f64 v[12:13], -v[12:13], v[44:45], v[30:31]
	s_delay_alu instid0(VALU_DEP_1) | instskip(NEXT) | instid1(VALU_DEP_1)
	v_div_fmas_f64 v[12:13], v[12:13], v[14:15], v[44:45]
	v_div_fixup_f64 v[8:9], v[12:13], v[100:101], v[8:9]
	s_delay_alu instid0(VALU_DEP_1) | instskip(SKIP_1) | instid1(VALU_DEP_1)
	v_add_f64_e64 v[4:5], v[4:5], -v[8:9]
	v_div_scale_f64 v[8:9], null, v[32:33], v[32:33], v[6:7]
	v_rcp_f64_e32 v[12:13], v[8:9]
	v_nop
	s_delay_alu instid0(TRANS32_DEP_1) | instskip(NEXT) | instid1(VALU_DEP_1)
	v_fma_f64 v[14:15], -v[8:9], v[12:13], 1.0
	v_fmac_f64_e32 v[12:13], v[12:13], v[14:15]
	s_delay_alu instid0(VALU_DEP_1) | instskip(NEXT) | instid1(VALU_DEP_1)
	v_fma_f64 v[14:15], -v[8:9], v[12:13], 1.0
	v_fmac_f64_e32 v[12:13], v[12:13], v[14:15]
	v_div_scale_f64 v[14:15], vcc_lo, v[6:7], v[32:33], v[6:7]
	s_delay_alu instid0(VALU_DEP_1) | instskip(NEXT) | instid1(VALU_DEP_1)
	v_mul_f64_e32 v[30:31], v[14:15], v[12:13]
	v_fma_f64 v[8:9], -v[8:9], v[30:31], v[14:15]
	s_delay_alu instid0(VALU_DEP_1) | instskip(NEXT) | instid1(VALU_DEP_1)
	v_div_fmas_f64 v[8:9], v[8:9], v[12:13], v[30:31]
	v_div_fixup_f64 v[6:7], v[8:9], v[32:33], v[6:7]
	s_delay_alu instid0(VALU_DEP_1) | instskip(NEXT) | instid1(VALU_DEP_1)
	v_add_f64_e64 v[4:5], v[4:5], -v[6:7]
	v_fmac_f64_e32 v[2:3], v[20:21], v[4:5]
	s_delay_alu instid0(VALU_DEP_1) | instskip(SKIP_2) | instid1(SALU_CYCLE_1)
	v_cmp_ngt_f64_e64 s0, |v[2:3]|, s[2:3]
	s_wait_xcnt 0x0
	s_and_saveexec_b32 s2, s0
	s_xor_b32 s0, exec_lo, s2
; %bb.70:
	v_mul_f64_e32 v[54:55], s[12:13], v[28:29]
                                        ; implicit-def: $vgpr2_vgpr3
                                        ; implicit-def: $vgpr28_vgpr29
; %bb.71:
	s_or_saveexec_b32 s2, s0
	v_ashrrev_i32_e32 v83, 31, v82
	v_lshl_add_u64 v[38:39], v[92:93], 3, s[8:9]
	s_xor_b32 exec_lo, exec_lo, s2
	s_cbranch_execz .LBB0_73
; %bb.72:
	v_mul_f64_e32 v[4:5], s[12:13], v[2:3]
	s_mov_b64 s[4:5], 0x3e5ade156a5dcb37
	s_delay_alu instid0(VALU_DEP_1) | instskip(SKIP_2) | instid1(VALU_DEP_3)
	v_mul_f64_e32 v[6:7], 0x3ff71547652b82fe, v[4:5]
	v_cmp_nlt_f64_e32 vcc_lo, 0x40900000, v[4:5]
	v_cmp_ngt_f64_e64 s0, 0xc090cc00, v[4:5]
	v_rndne_f64_e32 v[6:7], v[6:7]
	s_delay_alu instid0(VALU_DEP_1) | instskip(SKIP_1) | instid1(VALU_DEP_2)
	v_fmamk_f64 v[8:9], v[6:7], 0xbfe62e42fefa39ef, v[4:5]
	v_cvt_i32_f64_e32 v10, v[6:7]
	v_fmamk_f64 v[8:9], v[6:7], 0xbc7abc9e3b39803f, v[8:9]
	s_delay_alu instid0(VALU_DEP_1) | instskip(NEXT) | instid1(VALU_DEP_1)
	v_fmaak_f64 v[12:13], s[4:5], v[8:9], 0x3e928af3fca7ab0c
	v_fmaak_f64 v[12:13], v[8:9], v[12:13], 0x3ec71dee623fde64
	s_delay_alu instid0(VALU_DEP_1) | instskip(NEXT) | instid1(VALU_DEP_1)
	v_fmaak_f64 v[12:13], v[8:9], v[12:13], 0x3efa01997c89e6b0
	v_fmaak_f64 v[12:13], v[8:9], v[12:13], 0x3f2a01a014761f6e
	s_delay_alu instid0(VALU_DEP_1) | instskip(NEXT) | instid1(VALU_DEP_1)
	v_fmaak_f64 v[12:13], v[8:9], v[12:13], 0x3f56c16c1852b7b0
	v_fmaak_f64 v[12:13], v[8:9], v[12:13], 0x3f81111111122322
	s_delay_alu instid0(VALU_DEP_1) | instskip(NEXT) | instid1(VALU_DEP_1)
	v_fmaak_f64 v[12:13], v[8:9], v[12:13], 0x3fa55555555502a1
	v_fmaak_f64 v[12:13], v[8:9], v[12:13], 0x3fc5555555555511
	s_delay_alu instid0(VALU_DEP_1) | instskip(NEXT) | instid1(VALU_DEP_1)
	v_fmaak_f64 v[12:13], v[8:9], v[12:13], 0x3fe000000000000b
	v_fma_f64 v[12:13], v[8:9], v[12:13], 1.0
	s_delay_alu instid0(VALU_DEP_1) | instskip(NEXT) | instid1(VALU_DEP_1)
	v_fma_f64 v[6:7], v[8:9], v[12:13], 1.0
	v_ldexp_f64 v[6:7], v[6:7], v10
	s_delay_alu instid0(VALU_DEP_1) | instskip(NEXT) | instid1(VALU_DEP_1)
	v_add_f64_e32 v[6:7], -1.0, v[6:7]
	v_cndmask_b32_e32 v7, 0x7ff00000, v7, vcc_lo
	s_and_b32 vcc_lo, s0, vcc_lo
	s_delay_alu instid0(VALU_DEP_2) | instskip(NEXT) | instid1(VALU_DEP_2)
	v_cndmask_b32_e32 v4, 0, v6, vcc_lo
	v_cndmask_b32_e64 v5, 0xbff00000, v7, s0
	s_delay_alu instid0(VALU_DEP_1) | instskip(NEXT) | instid1(VALU_DEP_1)
	v_mul_f64_e32 v[4:5], v[28:29], v[4:5]
	v_div_scale_f64 v[6:7], null, v[2:3], v[2:3], v[4:5]
	s_delay_alu instid0(VALU_DEP_1) | instskip(SKIP_1) | instid1(TRANS32_DEP_1)
	v_rcp_f64_e32 v[8:9], v[6:7]
	v_nop
	v_fma_f64 v[12:13], -v[6:7], v[8:9], 1.0
	s_delay_alu instid0(VALU_DEP_1) | instskip(NEXT) | instid1(VALU_DEP_1)
	v_fmac_f64_e32 v[8:9], v[8:9], v[12:13]
	v_fma_f64 v[12:13], -v[6:7], v[8:9], 1.0
	s_delay_alu instid0(VALU_DEP_1) | instskip(SKIP_1) | instid1(VALU_DEP_1)
	v_fmac_f64_e32 v[8:9], v[8:9], v[12:13]
	v_div_scale_f64 v[12:13], vcc_lo, v[4:5], v[2:3], v[4:5]
	v_mul_f64_e32 v[14:15], v[12:13], v[8:9]
	s_delay_alu instid0(VALU_DEP_1) | instskip(NEXT) | instid1(VALU_DEP_1)
	v_fma_f64 v[6:7], -v[6:7], v[14:15], v[12:13]
	v_div_fmas_f64 v[6:7], v[6:7], v[8:9], v[14:15]
	s_delay_alu instid0(VALU_DEP_1)
	v_div_fixup_f64 v[54:55], v[6:7], v[2:3], v[4:5]
.LBB0_73:
	s_or_b32 exec_lo, exec_lo, s2
	s_clause 0x1
	scratch_load_b64 v[2:3], off, off offset:280 th:TH_LOAD_LU
	scratch_load_b64 v[16:17], off, off offset:72
	v_mov_b64_e32 v[58:59], 0x3e928af3fca7ab0c
	v_mov_b64_e32 v[46:47], 0x3ec71dee623fde64
	;; [unrolled: 1-line block ×5, first 2 shown]
	s_mov_b64 s[2:3], 0x3fe5555555555555
	v_mul_f64_e32 v[86:87], v[18:19], v[86:87]
	s_wait_loadcnt 0x1
	v_mul_f64_e32 v[94:95], v[2:3], v[74:75]
	scratch_load_b64 v[2:3], off, off offset:200 th:TH_LOAD_LU ; 8-byte Folded Reload
	s_wait_loadcnt 0x0
	v_add_f64_e32 v[44:45], v[16:17], v[2:3]
	scratch_load_b64 v[2:3], off, off offset:208 th:TH_LOAD_LU ; 8-byte Folded Reload
	s_wait_loadcnt 0x0
	v_add_f64_e32 v[32:33], v[2:3], v[74:75]
	v_mul_f64_e64 v[2:3], v[0:1], -v[18:19]
	s_delay_alu instid0(VALU_DEP_1) | instskip(NEXT) | instid1(VALU_DEP_1)
	v_div_scale_f64 v[4:5], null, v[98:99], v[98:99], v[2:3]
	v_rcp_f64_e32 v[6:7], v[4:5]
	v_nop
	s_delay_alu instid0(TRANS32_DEP_1) | instskip(NEXT) | instid1(VALU_DEP_1)
	v_fma_f64 v[8:9], -v[4:5], v[6:7], 1.0
	v_fmac_f64_e32 v[6:7], v[6:7], v[8:9]
	s_delay_alu instid0(VALU_DEP_1) | instskip(NEXT) | instid1(VALU_DEP_1)
	v_fma_f64 v[8:9], -v[4:5], v[6:7], 1.0
	v_fmac_f64_e32 v[6:7], v[6:7], v[8:9]
	v_div_scale_f64 v[8:9], vcc_lo, v[2:3], v[98:99], v[2:3]
	s_delay_alu instid0(VALU_DEP_1) | instskip(NEXT) | instid1(VALU_DEP_1)
	v_mul_f64_e32 v[12:13], v[8:9], v[6:7]
	v_fma_f64 v[4:5], -v[4:5], v[12:13], v[8:9]
	v_mov_b64_e32 v[8:9], 0x3fa55555555502a1
	s_delay_alu instid0(VALU_DEP_2) | instskip(SKIP_2) | instid1(VALU_DEP_3)
	v_div_fmas_f64 v[4:5], v[4:5], v[6:7], v[12:13]
	v_mov_b64_e32 v[12:13], 0x3f81111111122322
	v_mov_b64_e32 v[6:7], 0x3fc5555555555511
	v_div_fixup_f64 v[2:3], v[4:5], v[98:99], v[2:3]
	s_delay_alu instid0(VALU_DEP_1) | instskip(SKIP_2) | instid1(VALU_DEP_3)
	v_mul_f64_e32 v[4:5], 0x3ff71547652b82fe, v[2:3]
	v_cmp_nlt_f64_e32 vcc_lo, 0x40900000, v[2:3]
	v_cmp_ngt_f64_e64 s0, 0xc090cc00, v[2:3]
	v_rndne_f64_e32 v[60:61], v[4:5]
	s_delay_alu instid0(VALU_DEP_1) | instskip(SKIP_2) | instid1(VALU_DEP_3)
	v_fmamk_f64 v[66:67], v[60:61], 0xbfe62e42fefa39ef, v[2:3]
	v_cvt_i32_f64_e32 v10, v[60:61]
	v_mov_b64_e32 v[2:3], 1.0
	v_fmac_f64_e32 v[66:67], 0xbc7abc9e3b39803f, v[60:61]
	s_delay_alu instid0(VALU_DEP_1) | instskip(NEXT) | instid1(VALU_DEP_1)
	v_fmamk_f64 v[4:5], v[66:67], 0x3e5ade156a5dcb37, v[58:59]
	v_fmaak_f64 v[4:5], v[66:67], v[4:5], 0x3ec71dee623fde64
	s_delay_alu instid0(VALU_DEP_1) | instskip(NEXT) | instid1(VALU_DEP_1)
	v_fmaak_f64 v[4:5], v[66:67], v[4:5], 0x3efa01997c89e6b0
	v_fmaak_f64 v[4:5], v[66:67], v[4:5], 0x3f2a01a014761f6e
	s_delay_alu instid0(VALU_DEP_1) | instskip(NEXT) | instid1(VALU_DEP_1)
	v_fmaak_f64 v[4:5], v[66:67], v[4:5], 0x3f56c16c1852b7b0
	v_fmaak_f64 v[4:5], v[66:67], v[4:5], 0x3f81111111122322
	s_delay_alu instid0(VALU_DEP_1) | instskip(NEXT) | instid1(VALU_DEP_1)
	v_fmaak_f64 v[4:5], v[66:67], v[4:5], 0x3fa55555555502a1
	v_fmaak_f64 v[68:69], v[66:67], v[4:5], 0x3fc5555555555511
	v_mov_b64_e32 v[4:5], 0x3fe000000000000b
	s_delay_alu instid0(VALU_DEP_2) | instskip(NEXT) | instid1(VALU_DEP_1)
	v_fmaak_f64 v[68:69], v[66:67], v[68:69], 0x3fe000000000000b
	v_fma_f64 v[68:69], v[66:67], v[68:69], 1.0
	s_delay_alu instid0(VALU_DEP_1) | instskip(NEXT) | instid1(VALU_DEP_1)
	v_fma_f64 v[66:67], v[66:67], v[68:69], 1.0
	v_ldexp_f64 v[60:61], v[66:67], v10
	s_delay_alu instid0(VALU_DEP_1) | instskip(SKIP_1) | instid1(VALU_DEP_2)
	v_cndmask_b32_e32 v10, 0x7ff00000, v61, vcc_lo
	s_and_b32 vcc_lo, s0, vcc_lo
	v_cndmask_b32_e32 v100, 0, v60, vcc_lo
	v_mul_f64_e32 v[60:61], 0xbfb999999999999a, v[18:19]
	s_delay_alu instid0(VALU_DEP_3) | instskip(NEXT) | instid1(VALU_DEP_1)
	v_cndmask_b32_e64 v101, 0, v10, s0
	v_fmamk_f64 v[2:3], v[100:101], 0x3fa212d77318fc50, v[2:3]
	s_delay_alu instid0(VALU_DEP_3) | instskip(NEXT) | instid1(VALU_DEP_1)
	v_mul_f64_e32 v[60:61], v[0:1], v[60:61]
	v_div_scale_f64 v[66:67], null, v[98:99], v[98:99], v[60:61]
	s_delay_alu instid0(VALU_DEP_1) | instskip(SKIP_1) | instid1(TRANS32_DEP_1)
	v_rcp_f64_e32 v[68:69], v[66:67]
	v_nop
	v_fma_f64 v[76:77], -v[66:67], v[68:69], 1.0
	s_delay_alu instid0(VALU_DEP_1) | instskip(NEXT) | instid1(VALU_DEP_1)
	v_fmac_f64_e32 v[68:69], v[68:69], v[76:77]
	v_fma_f64 v[76:77], -v[66:67], v[68:69], 1.0
	s_delay_alu instid0(VALU_DEP_1) | instskip(SKIP_1) | instid1(VALU_DEP_1)
	v_fmac_f64_e32 v[68:69], v[68:69], v[76:77]
	v_div_scale_f64 v[76:77], vcc_lo, v[60:61], v[98:99], v[60:61]
	v_mul_f64_e32 v[88:89], v[76:77], v[68:69]
	s_delay_alu instid0(VALU_DEP_1) | instskip(NEXT) | instid1(VALU_DEP_1)
	v_fma_f64 v[66:67], -v[66:67], v[88:89], v[76:77]
	v_div_fmas_f64 v[66:67], v[66:67], v[68:69], v[88:89]
	s_delay_alu instid0(VALU_DEP_1) | instskip(NEXT) | instid1(VALU_DEP_1)
	v_div_fixup_f64 v[60:61], v[66:67], v[98:99], v[60:61]
	v_mul_f64_e32 v[66:67], 0x3ff71547652b82fe, v[60:61]
	v_cmp_nlt_f64_e32 vcc_lo, 0x40900000, v[60:61]
	v_cmp_ngt_f64_e64 s0, 0xc090cc00, v[60:61]
	s_delay_alu instid0(VALU_DEP_3) | instskip(NEXT) | instid1(VALU_DEP_1)
	v_rndne_f64_e32 v[66:67], v[66:67]
	v_fmamk_f64 v[68:69], v[66:67], 0xbfe62e42fefa39ef, v[60:61]
                                        ; implicit-def: $vgpr60_vgpr61
	s_delay_alu instid0(VALU_DEP_1) | instskip(NEXT) | instid1(VALU_DEP_1)
	v_fmac_f64_e32 v[68:69], 0xbc7abc9e3b39803f, v[66:67]
	v_fmac_f64_e32 v[58:59], 0x3e5ade156a5dcb37, v[68:69]
	s_delay_alu instid0(VALU_DEP_1) | instskip(NEXT) | instid1(VALU_DEP_1)
	v_fmac_f64_e32 v[46:47], v[68:69], v[58:59]
	v_fmac_f64_e32 v[30:31], v[68:69], v[46:47]
	;; [unrolled: 3-line block ×5, first 2 shown]
	v_cvt_i32_f64_e32 v6, v[66:67]
	s_delay_alu instid0(VALU_DEP_2) | instskip(NEXT) | instid1(VALU_DEP_1)
	v_fma_f64 v[4:5], v[68:69], v[4:5], 1.0
	v_fma_f64 v[4:5], v[68:69], v[4:5], 1.0
	s_delay_alu instid0(VALU_DEP_1) | instskip(NEXT) | instid1(VALU_DEP_1)
	v_ldexp_f64 v[4:5], v[4:5], v6
	v_cndmask_b32_e32 v5, 0x7ff00000, v5, vcc_lo
	s_and_b32 vcc_lo, s0, vcc_lo
	s_delay_alu instid0(VALU_DEP_2) | instid1(SALU_CYCLE_1)
	v_dual_mul_f64 v[20:21], v[16:17], v[94:95] :: v_dual_cndmask_b32 v104, 0, v4, vcc_lo
	s_delay_alu instid0(VALU_DEP_2) | instskip(SKIP_1) | instid1(VALU_DEP_2)
	v_cndmask_b32_e64 v105, 0, v5, s0
	v_mul_f64_e32 v[40:41], v[44:45], v[32:33]
	v_fmamk_f64 v[102:103], v[104:105], 0x3fbfdf3b645a1cac, v[2:3]
	s_delay_alu instid0(VALU_DEP_1) | instskip(NEXT) | instid1(VALU_DEP_1)
	v_mul_f64_e32 v[2:3], v[40:41], v[102:103]
	v_div_scale_f64 v[4:5], null, v[2:3], v[2:3], v[20:21]
	s_delay_alu instid0(VALU_DEP_1) | instskip(SKIP_1) | instid1(TRANS32_DEP_1)
	v_rcp_f64_e32 v[6:7], v[4:5]
	v_nop
	v_fma_f64 v[8:9], -v[4:5], v[6:7], 1.0
	s_delay_alu instid0(VALU_DEP_1) | instskip(NEXT) | instid1(VALU_DEP_1)
	v_fmac_f64_e32 v[6:7], v[6:7], v[8:9]
	v_fma_f64 v[8:9], -v[4:5], v[6:7], 1.0
	s_delay_alu instid0(VALU_DEP_1) | instskip(SKIP_1) | instid1(VALU_DEP_1)
	v_fmac_f64_e32 v[6:7], v[6:7], v[8:9]
	v_div_scale_f64 v[8:9], vcc_lo, v[20:21], v[2:3], v[20:21]
	v_mul_f64_e32 v[12:13], v[8:9], v[6:7]
	s_delay_alu instid0(VALU_DEP_1) | instskip(NEXT) | instid1(VALU_DEP_1)
	v_fma_f64 v[4:5], -v[4:5], v[12:13], v[8:9]
	v_div_fmas_f64 v[4:5], v[4:5], v[6:7], v[12:13]
	s_delay_alu instid0(VALU_DEP_1) | instskip(SKIP_1) | instid1(VALU_DEP_1)
	v_div_fixup_f64 v[28:29], v[4:5], v[2:3], v[20:21]
	v_div_scale_f64 v[4:5], null, v[16:17], v[16:17], v[80:81]
	v_rcp_f64_e32 v[6:7], v[4:5]
	v_nop
	s_delay_alu instid0(TRANS32_DEP_1) | instskip(NEXT) | instid1(VALU_DEP_1)
	v_fma_f64 v[8:9], -v[4:5], v[6:7], 1.0
	v_fmac_f64_e32 v[6:7], v[6:7], v[8:9]
	s_delay_alu instid0(VALU_DEP_1) | instskip(NEXT) | instid1(VALU_DEP_1)
	v_fma_f64 v[8:9], -v[4:5], v[6:7], 1.0
	v_fmac_f64_e32 v[6:7], v[6:7], v[8:9]
	v_div_scale_f64 v[8:9], vcc_lo, v[80:81], v[16:17], v[80:81]
	s_delay_alu instid0(VALU_DEP_1) | instskip(NEXT) | instid1(VALU_DEP_1)
	v_mul_f64_e32 v[12:13], v[8:9], v[6:7]
	v_fma_f64 v[4:5], -v[4:5], v[12:13], v[8:9]
	s_delay_alu instid0(VALU_DEP_1) | instskip(NEXT) | instid1(VALU_DEP_1)
	v_div_fmas_f64 v[4:5], v[4:5], v[6:7], v[12:13]
	v_div_fixup_f64 v[4:5], v[4:5], v[16:17], v[80:81]
	s_delay_alu instid0(VALU_DEP_1) | instskip(SKIP_1) | instid1(VALU_DEP_2)
	v_frexp_mant_f64_e32 v[6:7], v[4:5]
	v_frexp_exp_i32_f64_e32 v8, v[4:5]
	v_cmp_gt_f64_e32 vcc_lo, s[2:3], v[6:7]
	s_mov_b64 s[2:3], 0x3fc3ab76bf559e2b
	v_cndmask_b32_e64 v9, 0, 1, vcc_lo
	s_delay_alu instid0(VALU_DEP_3) | instskip(SKIP_1) | instid1(VALU_DEP_3)
	v_subrev_co_ci_u32_e64 v10, null, 0, v8, vcc_lo
	v_cmp_class_f64_e64 vcc_lo, v[4:5], 0x204
	v_ldexp_f64 v[6:7], v[6:7], v9
	s_delay_alu instid0(VALU_DEP_1) | instskip(SKIP_1) | instid1(VALU_DEP_2)
	v_add_f64_e32 v[12:13], 1.0, v[6:7]
	v_add_f64_e32 v[8:9], -1.0, v[6:7]
	v_add_f64_e32 v[14:15], -1.0, v[12:13]
	s_delay_alu instid0(VALU_DEP_1) | instskip(SKIP_2) | instid1(TRANS32_DEP_1)
	v_add_f64_e64 v[6:7], v[6:7], -v[14:15]
	v_rcp_f64_e32 v[14:15], v[12:13]
	v_nop
	v_fma_f64 v[30:31], -v[12:13], v[14:15], 1.0
	s_delay_alu instid0(VALU_DEP_1) | instskip(NEXT) | instid1(VALU_DEP_1)
	v_fmac_f64_e32 v[14:15], v[30:31], v[14:15]
	v_fma_f64 v[30:31], -v[12:13], v[14:15], 1.0
	s_delay_alu instid0(VALU_DEP_1) | instskip(NEXT) | instid1(VALU_DEP_1)
	v_fmac_f64_e32 v[14:15], v[30:31], v[14:15]
	v_mul_f64_e32 v[30:31], v[8:9], v[14:15]
	s_delay_alu instid0(VALU_DEP_1) | instskip(NEXT) | instid1(VALU_DEP_1)
	v_mul_f64_e32 v[46:47], v[12:13], v[30:31]
	v_fma_f64 v[12:13], v[30:31], v[12:13], -v[46:47]
	s_delay_alu instid0(VALU_DEP_1) | instskip(NEXT) | instid1(VALU_DEP_1)
	v_fmac_f64_e32 v[12:13], v[30:31], v[6:7]
	v_add_f64_e32 v[6:7], v[46:47], v[12:13]
	s_delay_alu instid0(VALU_DEP_1) | instskip(SKIP_1) | instid1(VALU_DEP_2)
	v_add_f64_e64 v[58:59], v[8:9], -v[6:7]
	v_add_f64_e64 v[46:47], v[6:7], -v[46:47]
	;; [unrolled: 1-line block ×3, first 2 shown]
	s_delay_alu instid0(VALU_DEP_1) | instskip(NEXT) | instid1(VALU_DEP_3)
	v_add_f64_e64 v[6:7], v[8:9], -v[6:7]
	v_add_f64_e64 v[8:9], v[46:47], -v[12:13]
	s_delay_alu instid0(VALU_DEP_1) | instskip(NEXT) | instid1(VALU_DEP_1)
	v_add_f64_e32 v[6:7], v[8:9], v[6:7]
	v_add_f64_e32 v[6:7], v[58:59], v[6:7]
	s_delay_alu instid0(VALU_DEP_1) | instskip(NEXT) | instid1(VALU_DEP_1)
	v_mul_f64_e32 v[6:7], v[14:15], v[6:7]
	v_add_f64_e32 v[8:9], v[30:31], v[6:7]
	s_delay_alu instid0(VALU_DEP_1) | instskip(SKIP_1) | instid1(VALU_DEP_2)
	v_add_f64_e64 v[12:13], v[8:9], -v[30:31]
	v_ldexp_f64 v[30:31], v[8:9], 1
	v_add_f64_e64 v[6:7], v[6:7], -v[12:13]
	v_mul_f64_e32 v[12:13], v[8:9], v[8:9]
	s_delay_alu instid0(VALU_DEP_2) | instskip(NEXT) | instid1(VALU_DEP_2)
	v_ldexp_f64 v[6:7], v[6:7], 1
	v_fmaak_f64 v[14:15], s[2:3], v[12:13], 0x3fc385386b47b09a
	v_mul_f64_e32 v[8:9], v[8:9], v[12:13]
	s_mov_b64 s[2:3], 0x3fe62e42fefa39ef
	s_delay_alu instid0(VALU_DEP_2) | instskip(NEXT) | instid1(VALU_DEP_1)
	v_fmaak_f64 v[14:15], v[12:13], v[14:15], 0x3fc7474dd7f4df2e
	v_fmaak_f64 v[14:15], v[12:13], v[14:15], 0x3fcc71c016291751
	s_delay_alu instid0(VALU_DEP_1) | instskip(NEXT) | instid1(VALU_DEP_1)
	v_fmaak_f64 v[14:15], v[12:13], v[14:15], 0x3fd249249b27acf1
	v_fmaak_f64 v[14:15], v[12:13], v[14:15], 0x3fd99999998ef7b6
	s_delay_alu instid0(VALU_DEP_1) | instskip(NEXT) | instid1(VALU_DEP_1)
	v_fmaak_f64 v[14:15], v[12:13], v[14:15], 0x3fe5555555555780
	v_mul_f64_e32 v[8:9], v[8:9], v[14:15]
	s_delay_alu instid0(VALU_DEP_1) | instskip(NEXT) | instid1(VALU_DEP_1)
	v_add_f64_e32 v[12:13], v[30:31], v[8:9]
	v_add_f64_e64 v[14:15], v[12:13], -v[30:31]
	s_delay_alu instid0(VALU_DEP_1) | instskip(NEXT) | instid1(VALU_DEP_1)
	v_add_f64_e64 v[8:9], v[8:9], -v[14:15]
	v_add_f64_e32 v[6:7], v[6:7], v[8:9]
	s_delay_alu instid0(VALU_DEP_1) | instskip(NEXT) | instid1(VALU_DEP_1)
	v_add_f64_e32 v[8:9], v[12:13], v[6:7]
	v_add_f64_e64 v[12:13], v[8:9], -v[12:13]
	s_delay_alu instid0(VALU_DEP_1) | instskip(SKIP_3) | instid1(VALU_DEP_1)
	v_add_f64_e64 v[6:7], v[6:7], -v[12:13]
	v_cvt_f64_i32_e32 v[12:13], v10
	scratch_load_b64 v[10:11], off, off     ; 8-byte Folded Reload
	v_mul_f64_e32 v[14:15], 0x3fe62e42fefa39ef, v[12:13]
	v_fma_f64 v[30:31], v[12:13], s[2:3], -v[14:15]
	s_mov_b64 s[2:3], 0x3e45798ee2308c3a
	s_delay_alu instid0(VALU_DEP_1) | instskip(NEXT) | instid1(VALU_DEP_1)
	v_fmamk_f64 v[12:13], v[12:13], 0x3c7abc9e3b39803f, v[30:31]
	v_add_f64_e32 v[30:31], v[14:15], v[12:13]
	s_delay_alu instid0(VALU_DEP_1) | instskip(NEXT) | instid1(VALU_DEP_1)
	v_add_f64_e64 v[14:15], v[30:31], -v[14:15]
	v_add_f64_e64 v[12:13], v[12:13], -v[14:15]
	v_add_f64_e32 v[14:15], v[30:31], v[8:9]
	s_delay_alu instid0(VALU_DEP_1) | instskip(NEXT) | instid1(VALU_DEP_1)
	v_add_f64_e64 v[46:47], v[14:15], -v[30:31]
	v_add_f64_e64 v[58:59], v[14:15], -v[46:47]
	;; [unrolled: 1-line block ×3, first 2 shown]
	s_delay_alu instid0(VALU_DEP_2) | instskip(NEXT) | instid1(VALU_DEP_1)
	v_add_f64_e64 v[30:31], v[30:31], -v[58:59]
	v_add_f64_e32 v[8:9], v[8:9], v[30:31]
	v_add_f64_e32 v[30:31], v[12:13], v[6:7]
	s_delay_alu instid0(VALU_DEP_1) | instskip(NEXT) | instid1(VALU_DEP_3)
	v_add_f64_e64 v[46:47], v[30:31], -v[12:13]
	v_add_f64_e32 v[8:9], v[30:31], v[8:9]
	s_delay_alu instid0(VALU_DEP_2) | instskip(SKIP_1) | instid1(VALU_DEP_2)
	v_add_f64_e64 v[58:59], v[30:31], -v[46:47]
	v_add_f64_e64 v[6:7], v[6:7], -v[46:47]
	;; [unrolled: 1-line block ×3, first 2 shown]
	s_delay_alu instid0(VALU_DEP_1) | instskip(SKIP_1) | instid1(VALU_DEP_1)
	v_add_f64_e32 v[6:7], v[6:7], v[12:13]
	v_add_f64_e32 v[12:13], v[14:15], v[8:9]
	v_add_f64_e64 v[14:15], v[12:13], -v[14:15]
	s_delay_alu instid0(VALU_DEP_1) | instskip(NEXT) | instid1(VALU_DEP_1)
	v_add_f64_e64 v[8:9], v[8:9], -v[14:15]
	v_add_f64_e32 v[6:7], v[6:7], v[8:9]
	s_delay_alu instid0(VALU_DEP_1) | instskip(NEXT) | instid1(VALU_DEP_1)
	v_add_f64_e32 v[6:7], v[12:13], v[6:7]
	v_dual_cndmask_b32 v6, v6, v4, vcc_lo :: v_dual_cndmask_b32 v7, -v7, -v5, vcc_lo
	v_cmp_ngt_f64_e32 vcc_lo, 0, v[4:5]
	s_delay_alu instid0(VALU_DEP_2) | instskip(SKIP_1) | instid1(VALU_DEP_4)
	v_cndmask_b32_e32 v7, 0xfff80000, v7, vcc_lo
	v_cmp_nge_f64_e32 vcc_lo, 0, v[4:5]
	v_cndmask_b32_e32 v6, 0, v6, vcc_lo
	v_cmp_neq_f64_e32 vcc_lo, 0, v[4:5]
	scratch_store_b64 off, v[40:41], off offset:288 ; 8-byte Folded Spill
	v_cndmask_b32_e32 v7, 0x7ff00000, v7, vcc_lo
	s_delay_alu instid0(VALU_DEP_1) | instskip(NEXT) | instid1(VALU_DEP_1)
	v_mul_f64_e32 v[4:5], v[98:99], v[6:7]
	v_div_scale_f64 v[6:7], null, v[18:19], v[18:19], v[4:5]
	s_delay_alu instid0(VALU_DEP_1) | instskip(SKIP_1) | instid1(TRANS32_DEP_1)
	v_rcp_f64_e32 v[8:9], v[6:7]
	v_nop
	v_fma_f64 v[12:13], -v[6:7], v[8:9], 1.0
	s_delay_alu instid0(VALU_DEP_1) | instskip(NEXT) | instid1(VALU_DEP_1)
	v_fmac_f64_e32 v[8:9], v[8:9], v[12:13]
	v_fma_f64 v[12:13], -v[6:7], v[8:9], 1.0
	s_delay_alu instid0(VALU_DEP_1) | instskip(SKIP_1) | instid1(VALU_DEP_1)
	v_fmac_f64_e32 v[8:9], v[8:9], v[12:13]
	v_div_scale_f64 v[12:13], vcc_lo, v[4:5], v[18:19], v[4:5]
	v_mul_f64_e32 v[14:15], v[12:13], v[8:9]
	s_delay_alu instid0(VALU_DEP_1) | instskip(NEXT) | instid1(VALU_DEP_1)
	v_fma_f64 v[6:7], -v[6:7], v[14:15], v[12:13]
	v_div_fmas_f64 v[6:7], v[6:7], v[8:9], v[14:15]
	scratch_load_b64 v[8:9], off, off offset:176 th:TH_LOAD_LU ; 8-byte Folded Reload
	v_div_fixup_f64 v[4:5], v[6:7], v[18:19], v[4:5]
	v_mul_f64_e32 v[6:7], v[90:91], v[90:91]
	s_delay_alu instid0(VALU_DEP_2) | instskip(NEXT) | instid1(VALU_DEP_2)
	v_add_f64_e32 v[4:5], v[0:1], v[4:5]
	v_mul_f64_e32 v[6:7], v[90:91], v[6:7]
	s_wait_loadcnt 0x0
	s_delay_alu instid0(VALU_DEP_1) | instskip(NEXT) | instid1(VALU_DEP_1)
	v_mul_f64_e32 v[12:13], v[6:7], v[8:9]
	v_mul_f64_e32 v[6:7], v[12:13], v[4:5]
	s_delay_alu instid0(VALU_DEP_1) | instskip(SKIP_1) | instid1(VALU_DEP_2)
	v_mul_f64_e32 v[6:7], v[84:85], v[6:7]
	v_mul_f64_e32 v[84:85], v[84:85], v[12:13]
	;; [unrolled: 1-line block ×3, first 2 shown]
	v_add_f64_e32 v[6:7], v[56:57], v[54:55]
	s_delay_alu instid0(VALU_DEP_3) | instskip(SKIP_3) | instid1(VALU_DEP_1)
	v_mul_f64_e32 v[12:13], v[48:49], v[84:85]
	global_store_b64 v[38:39], v[6:7], off
	s_wait_xcnt 0x0
	v_fma_f64 v[6:7], -v[50:51], v[4:5], -v[108:109]
	v_fmac_f64_e32 v[6:7], 0xc0080000, v[24:25]
	s_delay_alu instid0(VALU_DEP_1) | instskip(NEXT) | instid1(VALU_DEP_1)
	v_fmac_f64_e32 v[6:7], 0xc0080000, v[28:29]
	v_mul_f64_e32 v[6:7], v[10:11], v[6:7]
	s_delay_alu instid0(VALU_DEP_1) | instskip(NEXT) | instid1(VALU_DEP_1)
	v_div_scale_f64 v[8:9], null, v[86:87], v[86:87], v[6:7]
	v_rcp_f64_e32 v[14:15], v[8:9]
	v_nop
	s_delay_alu instid0(TRANS32_DEP_1) | instskip(NEXT) | instid1(VALU_DEP_1)
	v_fma_f64 v[30:31], -v[8:9], v[14:15], 1.0
	v_fmac_f64_e32 v[14:15], v[14:15], v[30:31]
	s_delay_alu instid0(VALU_DEP_1) | instskip(NEXT) | instid1(VALU_DEP_1)
	v_fma_f64 v[30:31], -v[8:9], v[14:15], 1.0
	v_fmac_f64_e32 v[14:15], v[14:15], v[30:31]
	v_div_scale_f64 v[30:31], vcc_lo, v[6:7], v[86:87], v[6:7]
	s_delay_alu instid0(VALU_DEP_1) | instskip(NEXT) | instid1(VALU_DEP_1)
	v_mul_f64_e32 v[38:39], v[30:31], v[14:15]
	v_fma_f64 v[8:9], -v[8:9], v[38:39], v[30:31]
	s_delay_alu instid0(VALU_DEP_1) | instskip(NEXT) | instid1(VALU_DEP_1)
	v_div_fmas_f64 v[8:9], v[8:9], v[14:15], v[38:39]
	v_div_fixup_f64 v[6:7], v[8:9], v[86:87], v[6:7]
	s_clause 0x1
	scratch_load_b64 v[8:9], off, off offset:88
	scratch_load_b64 v[14:15], off, off offset:96
	s_wait_loadcnt 0x0
	v_mul_f64_e64 v[90:91], v[14:15], -v[8:9]
	v_mul_f64_e32 v[8:9], v[16:17], v[18:19]
	scratch_load_b64 v[16:17], off, off offset:64 ; 8-byte Folded Reload
	v_div_scale_f64 v[14:15], null, v[8:9], v[8:9], v[90:91]
	s_delay_alu instid0(VALU_DEP_1) | instskip(SKIP_1) | instid1(TRANS32_DEP_1)
	v_rcp_f64_e32 v[30:31], v[14:15]
	v_nop
	v_fma_f64 v[38:39], -v[14:15], v[30:31], 1.0
	s_delay_alu instid0(VALU_DEP_1) | instskip(NEXT) | instid1(VALU_DEP_1)
	v_fmac_f64_e32 v[30:31], v[30:31], v[38:39]
	v_fma_f64 v[38:39], -v[14:15], v[30:31], 1.0
	s_delay_alu instid0(VALU_DEP_1) | instskip(SKIP_1) | instid1(VALU_DEP_1)
	v_fmac_f64_e32 v[30:31], v[30:31], v[38:39]
	v_div_scale_f64 v[38:39], vcc_lo, v[90:91], v[8:9], v[90:91]
	v_mul_f64_e32 v[46:47], v[38:39], v[30:31]
	s_delay_alu instid0(VALU_DEP_1) | instskip(NEXT) | instid1(VALU_DEP_1)
	v_fma_f64 v[14:15], -v[14:15], v[46:47], v[38:39]
	v_div_fmas_f64 v[14:15], v[14:15], v[30:31], v[46:47]
	s_delay_alu instid0(VALU_DEP_1) | instskip(SKIP_3) | instid1(VALU_DEP_1)
	v_div_fixup_f64 v[8:9], v[14:15], v[8:9], v[90:91]
	scratch_load_b64 v[14:15], off, off offset:16 ; 8-byte Folded Reload
	s_wait_loadcnt 0x0
	v_mul_f64_e32 v[14:15], 0x40080000, v[14:15]
	v_mul_f64_e32 v[14:15], v[16:17], v[14:15]
	s_delay_alu instid0(VALU_DEP_1) | instskip(NEXT) | instid1(VALU_DEP_1)
	v_mul_f64_e32 v[14:15], v[52:53], v[14:15]
	v_mul_f64_e32 v[14:15], v[14:15], v[120:121]
	s_delay_alu instid0(VALU_DEP_1) | instskip(NEXT) | instid1(VALU_DEP_1)
	v_div_scale_f64 v[30:31], null, v[64:65], v[64:65], v[14:15]
	v_rcp_f64_e32 v[38:39], v[30:31]
	v_nop
	s_delay_alu instid0(TRANS32_DEP_1) | instskip(NEXT) | instid1(VALU_DEP_1)
	v_fma_f64 v[46:47], -v[30:31], v[38:39], 1.0
	v_fmac_f64_e32 v[38:39], v[38:39], v[46:47]
	s_delay_alu instid0(VALU_DEP_1) | instskip(NEXT) | instid1(VALU_DEP_1)
	v_fma_f64 v[46:47], -v[30:31], v[38:39], 1.0
	v_fmac_f64_e32 v[38:39], v[38:39], v[46:47]
	v_div_scale_f64 v[46:47], vcc_lo, v[14:15], v[64:65], v[14:15]
	s_delay_alu instid0(VALU_DEP_1) | instskip(NEXT) | instid1(VALU_DEP_1)
	v_mul_f64_e32 v[54:55], v[46:47], v[38:39]
	v_fma_f64 v[30:31], -v[30:31], v[54:55], v[46:47]
	s_delay_alu instid0(VALU_DEP_1) | instskip(NEXT) | instid1(VALU_DEP_1)
	v_div_fmas_f64 v[30:31], v[30:31], v[38:39], v[54:55]
	v_div_fixup_f64 v[14:15], v[30:31], v[64:65], v[14:15]
	v_div_scale_f64 v[30:31], null, v[2:3], v[2:3], v[94:95]
	s_delay_alu instid0(VALU_DEP_1) | instskip(SKIP_1) | instid1(TRANS32_DEP_1)
	v_rcp_f64_e32 v[38:39], v[30:31]
	v_nop
	v_fma_f64 v[46:47], -v[30:31], v[38:39], 1.0
	s_delay_alu instid0(VALU_DEP_1) | instskip(NEXT) | instid1(VALU_DEP_1)
	v_fmac_f64_e32 v[38:39], v[38:39], v[46:47]
	v_fma_f64 v[46:47], -v[30:31], v[38:39], 1.0
	s_delay_alu instid0(VALU_DEP_1) | instskip(SKIP_1) | instid1(VALU_DEP_1)
	v_fmac_f64_e32 v[38:39], v[38:39], v[46:47]
	v_div_scale_f64 v[46:47], vcc_lo, v[94:95], v[2:3], v[94:95]
	v_mul_f64_e32 v[54:55], v[46:47], v[38:39]
	s_delay_alu instid0(VALU_DEP_1) | instskip(NEXT) | instid1(VALU_DEP_1)
	v_fma_f64 v[30:31], -v[30:31], v[54:55], v[46:47]
	v_div_fmas_f64 v[30:31], v[30:31], v[38:39], v[54:55]
	s_delay_alu instid0(VALU_DEP_1) | instskip(SKIP_1) | instid1(VALU_DEP_1)
	v_div_fixup_f64 v[2:3], v[30:31], v[2:3], v[94:95]
	v_mul_f64_e32 v[30:31], v[44:45], v[44:45]
	v_mul_f64_e32 v[30:31], v[30:31], v[32:33]
	s_delay_alu instid0(VALU_DEP_1) | instskip(NEXT) | instid1(VALU_DEP_1)
	v_mul_f64_e32 v[30:31], v[30:31], v[102:103]
	v_div_scale_f64 v[32:33], null, v[30:31], v[30:31], v[20:21]
	s_delay_alu instid0(VALU_DEP_1) | instskip(SKIP_1) | instid1(TRANS32_DEP_1)
	v_rcp_f64_e32 v[38:39], v[32:33]
	v_nop
	v_fma_f64 v[44:45], -v[32:33], v[38:39], 1.0
	s_delay_alu instid0(VALU_DEP_1) | instskip(NEXT) | instid1(VALU_DEP_1)
	v_fmac_f64_e32 v[38:39], v[38:39], v[44:45]
	v_fma_f64 v[44:45], -v[32:33], v[38:39], 1.0
	s_delay_alu instid0(VALU_DEP_1) | instskip(SKIP_1) | instid1(VALU_DEP_1)
	v_fmac_f64_e32 v[38:39], v[38:39], v[44:45]
	v_div_scale_f64 v[44:45], vcc_lo, v[20:21], v[30:31], v[20:21]
	v_mul_f64_e32 v[46:47], v[44:45], v[38:39]
	s_delay_alu instid0(VALU_DEP_1) | instskip(NEXT) | instid1(VALU_DEP_1)
	v_fma_f64 v[32:33], -v[32:33], v[46:47], v[44:45]
	v_div_fmas_f64 v[32:33], v[32:33], v[38:39], v[46:47]
	s_delay_alu instid0(VALU_DEP_1) | instskip(NEXT) | instid1(VALU_DEP_1)
	v_div_fixup_f64 v[20:21], v[32:33], v[30:31], v[20:21]
	v_add_f64_e64 v[2:3], v[2:3], -v[20:21]
	s_delay_alu instid0(VALU_DEP_1) | instskip(NEXT) | instid1(VALU_DEP_1)
	v_mul_f64_e32 v[2:3], 0xc0080000, v[2:3]
	v_fmac_f64_e32 v[2:3], 0xc0080000, v[14:15]
	s_delay_alu instid0(VALU_DEP_1) | instskip(NEXT) | instid1(VALU_DEP_1)
	v_fmac_f64_e32 v[2:3], v[50:51], v[8:9]
	v_fmac_f64_e32 v[2:3], v[12:13], v[8:9]
	s_delay_alu instid0(VALU_DEP_1) | instskip(NEXT) | instid1(VALU_DEP_1)
	v_mul_f64_e32 v[2:3], v[10:11], v[2:3]
	v_div_scale_f64 v[8:9], null, v[86:87], v[86:87], v[2:3]
	s_delay_alu instid0(VALU_DEP_1) | instskip(SKIP_1) | instid1(TRANS32_DEP_1)
	v_rcp_f64_e32 v[12:13], v[8:9]
	v_nop
	v_fma_f64 v[14:15], -v[8:9], v[12:13], 1.0
	s_delay_alu instid0(VALU_DEP_1) | instskip(NEXT) | instid1(VALU_DEP_1)
	v_fmac_f64_e32 v[12:13], v[12:13], v[14:15]
	v_fma_f64 v[14:15], -v[8:9], v[12:13], 1.0
	s_delay_alu instid0(VALU_DEP_1) | instskip(SKIP_1) | instid1(VALU_DEP_1)
	v_fmac_f64_e32 v[12:13], v[12:13], v[14:15]
	v_div_scale_f64 v[14:15], vcc_lo, v[2:3], v[86:87], v[2:3]
	v_mul_f64_e32 v[20:21], v[14:15], v[12:13]
	s_delay_alu instid0(VALU_DEP_1) | instskip(NEXT) | instid1(VALU_DEP_1)
	v_fma_f64 v[8:9], -v[8:9], v[20:21], v[14:15]
	v_div_fmas_f64 v[8:9], v[8:9], v[12:13], v[20:21]
	s_delay_alu instid0(VALU_DEP_1) | instskip(NEXT) | instid1(VALU_DEP_1)
	v_div_fixup_f64 v[2:3], v[8:9], v[86:87], v[2:3]
	v_cmp_ngt_f64_e64 s0, |v[2:3]|, s[2:3]
	s_wait_xcnt 0x0
	s_and_saveexec_b32 s2, s0
	s_delay_alu instid0(SALU_CYCLE_1)
	s_xor_b32 s0, exec_lo, s2
; %bb.74:
	v_mul_f64_e32 v[60:61], s[12:13], v[6:7]
                                        ; implicit-def: $vgpr2_vgpr3
                                        ; implicit-def: $vgpr6_vgpr7
; %bb.75:
	s_or_saveexec_b32 s2, s0
	s_clause 0x2
	scratch_store_b64 off, v[120:121], off offset:280
	scratch_store_b64 off, v[36:37], off offset:208
	;; [unrolled: 1-line block ×3, first 2 shown]
	v_mul_f64_e32 v[114:115], v[50:51], v[4:5]
	scratch_load_b64 v[4:5], off, off offset:48 ; 8-byte Folded Reload
	v_mov_b64_e32 v[118:119], v[34:35]
	v_lshl_add_u64 v[126:127], v[82:83], 3, s[8:9]
	s_wait_loadcnt 0x0
	v_ashrrev_i32_e32 v5, 31, v4
	s_clause 0x1
	scratch_store_b64 off, v[50:51], off offset:200
	scratch_store_b64 off, v[4:5], off offset:48
	s_wait_xcnt 0x0
	s_xor_b32 exec_lo, exec_lo, s2
	s_cbranch_execz .LBB0_77
; %bb.76:
	v_mul_f64_e32 v[4:5], s[12:13], v[2:3]
	s_mov_b64 s[4:5], 0x3e5ade156a5dcb37
	s_delay_alu instid0(VALU_DEP_1) | instskip(SKIP_2) | instid1(VALU_DEP_3)
	v_mul_f64_e32 v[8:9], 0x3ff71547652b82fe, v[4:5]
	v_cmp_nlt_f64_e32 vcc_lo, 0x40900000, v[4:5]
	v_cmp_ngt_f64_e64 s0, 0xc090cc00, v[4:5]
	v_rndne_f64_e32 v[8:9], v[8:9]
	s_delay_alu instid0(VALU_DEP_1) | instskip(SKIP_1) | instid1(VALU_DEP_2)
	v_fmamk_f64 v[12:13], v[8:9], 0xbfe62e42fefa39ef, v[4:5]
	v_cvt_i32_f64_e32 v10, v[8:9]
	v_fmamk_f64 v[12:13], v[8:9], 0xbc7abc9e3b39803f, v[12:13]
	s_delay_alu instid0(VALU_DEP_1) | instskip(NEXT) | instid1(VALU_DEP_1)
	v_fmaak_f64 v[14:15], s[4:5], v[12:13], 0x3e928af3fca7ab0c
	v_fmaak_f64 v[14:15], v[12:13], v[14:15], 0x3ec71dee623fde64
	s_delay_alu instid0(VALU_DEP_1) | instskip(NEXT) | instid1(VALU_DEP_1)
	v_fmaak_f64 v[14:15], v[12:13], v[14:15], 0x3efa01997c89e6b0
	v_fmaak_f64 v[14:15], v[12:13], v[14:15], 0x3f2a01a014761f6e
	;; [unrolled: 3-line block ×4, first 2 shown]
	s_delay_alu instid0(VALU_DEP_1) | instskip(NEXT) | instid1(VALU_DEP_1)
	v_fmaak_f64 v[14:15], v[12:13], v[14:15], 0x3fe000000000000b
	v_fma_f64 v[14:15], v[12:13], v[14:15], 1.0
	s_delay_alu instid0(VALU_DEP_1) | instskip(NEXT) | instid1(VALU_DEP_1)
	v_fma_f64 v[8:9], v[12:13], v[14:15], 1.0
	v_ldexp_f64 v[8:9], v[8:9], v10
	s_delay_alu instid0(VALU_DEP_1) | instskip(NEXT) | instid1(VALU_DEP_1)
	v_add_f64_e32 v[8:9], -1.0, v[8:9]
	v_cndmask_b32_e32 v9, 0x7ff00000, v9, vcc_lo
	s_and_b32 vcc_lo, s0, vcc_lo
	s_delay_alu instid0(VALU_DEP_2) | instskip(NEXT) | instid1(VALU_DEP_2)
	v_cndmask_b32_e32 v4, 0, v8, vcc_lo
	v_cndmask_b32_e64 v5, 0xbff00000, v9, s0
	s_delay_alu instid0(VALU_DEP_1) | instskip(NEXT) | instid1(VALU_DEP_1)
	v_mul_f64_e32 v[4:5], v[4:5], v[6:7]
	v_div_scale_f64 v[6:7], null, v[2:3], v[2:3], v[4:5]
	s_delay_alu instid0(VALU_DEP_1) | instskip(SKIP_1) | instid1(TRANS32_DEP_1)
	v_rcp_f64_e32 v[8:9], v[6:7]
	v_nop
	v_fma_f64 v[12:13], -v[6:7], v[8:9], 1.0
	s_delay_alu instid0(VALU_DEP_1) | instskip(NEXT) | instid1(VALU_DEP_1)
	v_fmac_f64_e32 v[8:9], v[8:9], v[12:13]
	v_fma_f64 v[12:13], -v[6:7], v[8:9], 1.0
	s_delay_alu instid0(VALU_DEP_1) | instskip(SKIP_1) | instid1(VALU_DEP_1)
	v_fmac_f64_e32 v[8:9], v[8:9], v[12:13]
	v_div_scale_f64 v[12:13], vcc_lo, v[4:5], v[2:3], v[4:5]
	v_mul_f64_e32 v[14:15], v[12:13], v[8:9]
	s_delay_alu instid0(VALU_DEP_1) | instskip(NEXT) | instid1(VALU_DEP_1)
	v_fma_f64 v[6:7], -v[6:7], v[14:15], v[12:13]
	v_div_fmas_f64 v[6:7], v[6:7], v[8:9], v[14:15]
	s_delay_alu instid0(VALU_DEP_1)
	v_div_fixup_f64 v[60:61], v[6:7], v[2:3], v[4:5]
.LBB0_77:
	s_or_b32 exec_lo, exec_lo, s2
	s_clause 0x3
	scratch_load_b64 v[16:17], off, off offset:56
	scratch_load_b64 v[78:79], off, off offset:104
	scratch_load_b64 v[92:93], off, off offset:80 th:TH_LOAD_LU
	scratch_load_b64 v[40:41], off, off offset:72 th:TH_LOAD_LU
	s_mov_b64 s[2:3], 0x3fe5555555555555
	v_mov_b64_e32 v[116:117], 0x3fc385386b47b09a
	s_mov_b64 s[4:5], 0x3fe62e42fefa39ef
	scratch_load_b64 v[70:71], off, off offset:192 th:TH_LOAD_LU ; 8-byte Folded Reload
	v_mov_b64_e32 v[120:121], 1.0
	v_mov_b64_e32 v[106:107], 0x3fc7474dd7f4df2e
	v_mov_b64_e32 v[58:59], 0x3fd249249b27acf1
	;; [unrolled: 1-line block ×7, first 2 shown]
	scratch_load_b64 v[96:97], off, off offset:168 th:TH_LOAD_LU ; 8-byte Folded Reload
	s_wait_loadcnt 0x5
	v_div_scale_f64 v[2:3], null, v[16:17], v[16:17], v[74:75]
	s_delay_alu instid0(VALU_DEP_1) | instskip(SKIP_1) | instid1(TRANS32_DEP_1)
	v_rcp_f64_e32 v[4:5], v[2:3]
	v_nop
	v_fma_f64 v[6:7], -v[2:3], v[4:5], 1.0
	s_delay_alu instid0(VALU_DEP_1) | instskip(NEXT) | instid1(VALU_DEP_1)
	v_fmac_f64_e32 v[4:5], v[4:5], v[6:7]
	v_fma_f64 v[6:7], -v[2:3], v[4:5], 1.0
	s_delay_alu instid0(VALU_DEP_1) | instskip(SKIP_1) | instid1(VALU_DEP_1)
	v_fmac_f64_e32 v[4:5], v[4:5], v[6:7]
	v_div_scale_f64 v[6:7], vcc_lo, v[74:75], v[16:17], v[74:75]
	v_mul_f64_e32 v[8:9], v[6:7], v[4:5]
	s_delay_alu instid0(VALU_DEP_1) | instskip(NEXT) | instid1(VALU_DEP_1)
	v_fma_f64 v[2:3], -v[2:3], v[8:9], v[6:7]
	v_div_fmas_f64 v[2:3], v[2:3], v[4:5], v[8:9]
	s_delay_alu instid0(VALU_DEP_1) | instskip(NEXT) | instid1(VALU_DEP_1)
	v_div_fixup_f64 v[2:3], v[2:3], v[16:17], v[74:75]
	v_frexp_mant_f64_e32 v[4:5], v[2:3]
	v_frexp_exp_i32_f64_e32 v6, v[2:3]
	s_delay_alu instid0(VALU_DEP_2) | instskip(SKIP_1) | instid1(VALU_DEP_3)
	v_cmp_gt_f64_e32 vcc_lo, s[2:3], v[4:5]
	v_cndmask_b32_e64 v7, 0, 1, vcc_lo
	v_subrev_co_ci_u32_e64 v10, null, 0, v6, vcc_lo
	v_cmp_class_f64_e64 vcc_lo, v[2:3], 0x204
	s_delay_alu instid0(VALU_DEP_3) | instskip(NEXT) | instid1(VALU_DEP_1)
	v_ldexp_f64 v[4:5], v[4:5], v7
	v_add_f64_e32 v[8:9], 1.0, v[4:5]
	v_add_f64_e32 v[6:7], -1.0, v[4:5]
	s_delay_alu instid0(VALU_DEP_2) | instskip(NEXT) | instid1(VALU_DEP_1)
	v_add_f64_e32 v[12:13], -1.0, v[8:9]
	v_add_f64_e64 v[4:5], v[4:5], -v[12:13]
	v_rcp_f64_e32 v[12:13], v[8:9]
	v_nop
	s_delay_alu instid0(TRANS32_DEP_1) | instskip(NEXT) | instid1(VALU_DEP_1)
	v_fma_f64 v[14:15], -v[8:9], v[12:13], 1.0
	v_fmac_f64_e32 v[12:13], v[14:15], v[12:13]
	s_delay_alu instid0(VALU_DEP_1) | instskip(NEXT) | instid1(VALU_DEP_1)
	v_fma_f64 v[14:15], -v[8:9], v[12:13], 1.0
	v_fmac_f64_e32 v[12:13], v[14:15], v[12:13]
	s_delay_alu instid0(VALU_DEP_1) | instskip(NEXT) | instid1(VALU_DEP_1)
	v_mul_f64_e32 v[14:15], v[6:7], v[12:13]
	v_mul_f64_e32 v[20:21], v[8:9], v[14:15]
	s_delay_alu instid0(VALU_DEP_1) | instskip(NEXT) | instid1(VALU_DEP_1)
	v_fma_f64 v[8:9], v[14:15], v[8:9], -v[20:21]
	v_fmac_f64_e32 v[8:9], v[14:15], v[4:5]
	s_delay_alu instid0(VALU_DEP_1) | instskip(NEXT) | instid1(VALU_DEP_1)
	v_add_f64_e32 v[4:5], v[20:21], v[8:9]
	v_add_f64_e64 v[30:31], v[6:7], -v[4:5]
	v_add_f64_e64 v[20:21], v[4:5], -v[20:21]
	s_delay_alu instid0(VALU_DEP_2) | instskip(NEXT) | instid1(VALU_DEP_1)
	v_add_f64_e64 v[6:7], v[6:7], -v[30:31]
	v_add_f64_e64 v[4:5], v[6:7], -v[4:5]
	s_delay_alu instid0(VALU_DEP_3) | instskip(NEXT) | instid1(VALU_DEP_1)
	v_add_f64_e64 v[6:7], v[20:21], -v[8:9]
	v_add_f64_e32 v[4:5], v[6:7], v[4:5]
	s_delay_alu instid0(VALU_DEP_1) | instskip(SKIP_1) | instid1(VALU_DEP_2)
	v_add_f64_e32 v[4:5], v[30:31], v[4:5]
	v_mov_b64_e32 v[30:31], 0x3fcc71c016291751
	v_mul_f64_e32 v[4:5], v[12:13], v[4:5]
	s_delay_alu instid0(VALU_DEP_1) | instskip(NEXT) | instid1(VALU_DEP_1)
	v_add_f64_e32 v[6:7], v[14:15], v[4:5]
	v_add_f64_e64 v[8:9], v[6:7], -v[14:15]
	v_ldexp_f64 v[14:15], v[6:7], 1
	s_delay_alu instid0(VALU_DEP_2) | instskip(SKIP_1) | instid1(VALU_DEP_2)
	v_add_f64_e64 v[4:5], v[4:5], -v[8:9]
	v_mul_f64_e32 v[8:9], v[6:7], v[6:7]
	v_ldexp_f64 v[4:5], v[4:5], 1
	s_delay_alu instid0(VALU_DEP_2) | instskip(SKIP_1) | instid1(VALU_DEP_2)
	v_fmamk_f64 v[12:13], v[8:9], 0x3fc3ab76bf559e2b, v[116:117]
	v_mul_f64_e32 v[6:7], v[6:7], v[8:9]
	v_fmaak_f64 v[12:13], v[8:9], v[12:13], 0x3fc7474dd7f4df2e
	s_delay_alu instid0(VALU_DEP_1) | instskip(NEXT) | instid1(VALU_DEP_1)
	v_fmaak_f64 v[12:13], v[8:9], v[12:13], 0x3fcc71c016291751
	v_fmaak_f64 v[12:13], v[8:9], v[12:13], 0x3fd249249b27acf1
	s_delay_alu instid0(VALU_DEP_1) | instskip(NEXT) | instid1(VALU_DEP_1)
	v_fmaak_f64 v[12:13], v[8:9], v[12:13], 0x3fd99999998ef7b6
	v_fmaak_f64 v[12:13], v[8:9], v[12:13], 0x3fe5555555555780
	s_delay_alu instid0(VALU_DEP_1) | instskip(NEXT) | instid1(VALU_DEP_1)
	v_mul_f64_e32 v[6:7], v[6:7], v[12:13]
	v_add_f64_e32 v[8:9], v[14:15], v[6:7]
	s_delay_alu instid0(VALU_DEP_1) | instskip(NEXT) | instid1(VALU_DEP_1)
	v_add_f64_e64 v[12:13], v[8:9], -v[14:15]
	v_add_f64_e64 v[6:7], v[6:7], -v[12:13]
	s_delay_alu instid0(VALU_DEP_1) | instskip(NEXT) | instid1(VALU_DEP_1)
	v_add_f64_e32 v[4:5], v[4:5], v[6:7]
	v_add_f64_e32 v[6:7], v[8:9], v[4:5]
	s_delay_alu instid0(VALU_DEP_1) | instskip(NEXT) | instid1(VALU_DEP_1)
	v_add_f64_e64 v[8:9], v[6:7], -v[8:9]
	v_add_f64_e64 v[4:5], v[4:5], -v[8:9]
	v_cvt_f64_i32_e32 v[8:9], v10
	s_delay_alu instid0(VALU_DEP_1) | instskip(NEXT) | instid1(VALU_DEP_1)
	v_mul_f64_e32 v[12:13], 0x3fe62e42fefa39ef, v[8:9]
	v_fma_f64 v[14:15], v[8:9], s[4:5], -v[12:13]
	s_delay_alu instid0(VALU_DEP_1) | instskip(NEXT) | instid1(VALU_DEP_1)
	v_fmac_f64_e32 v[14:15], 0x3c7abc9e3b39803f, v[8:9]
	v_add_f64_e32 v[8:9], v[12:13], v[14:15]
	s_delay_alu instid0(VALU_DEP_1) | instskip(NEXT) | instid1(VALU_DEP_1)
	v_add_f64_e64 v[12:13], v[8:9], -v[12:13]
	v_add_f64_e64 v[12:13], v[14:15], -v[12:13]
	v_add_f64_e32 v[14:15], v[8:9], v[6:7]
	s_delay_alu instid0(VALU_DEP_1) | instskip(NEXT) | instid1(VALU_DEP_1)
	v_add_f64_e64 v[20:21], v[14:15], -v[8:9]
	v_add_f64_e64 v[32:33], v[14:15], -v[20:21]
	;; [unrolled: 1-line block ×3, first 2 shown]
	s_delay_alu instid0(VALU_DEP_2) | instskip(NEXT) | instid1(VALU_DEP_1)
	v_add_f64_e64 v[8:9], v[8:9], -v[32:33]
	v_add_f64_e32 v[6:7], v[6:7], v[8:9]
	v_add_f64_e32 v[8:9], v[12:13], v[4:5]
	s_delay_alu instid0(VALU_DEP_1) | instskip(NEXT) | instid1(VALU_DEP_3)
	v_add_f64_e64 v[20:21], v[8:9], -v[12:13]
	v_add_f64_e32 v[6:7], v[8:9], v[6:7]
	s_delay_alu instid0(VALU_DEP_2) | instskip(SKIP_1) | instid1(VALU_DEP_3)
	v_add_f64_e64 v[32:33], v[8:9], -v[20:21]
	v_add_f64_e64 v[4:5], v[4:5], -v[20:21]
	v_add_f64_e32 v[8:9], v[14:15], v[6:7]
	v_mul_f64_e32 v[20:21], 0xbfc5679941ed2a05, v[0:1]
	s_delay_alu instid0(VALU_DEP_4) | instskip(NEXT) | instid1(VALU_DEP_2)
	v_add_f64_e64 v[12:13], v[12:13], -v[32:33]
	v_cmp_ngt_f64_e64 s0, 0xc090cc00, v[20:21]
	s_delay_alu instid0(VALU_DEP_2) | instskip(SKIP_1) | instid1(VALU_DEP_1)
	v_add_f64_e32 v[4:5], v[4:5], v[12:13]
	v_add_f64_e64 v[12:13], v[8:9], -v[14:15]
	v_add_f64_e64 v[6:7], v[6:7], -v[12:13]
	s_delay_alu instid0(VALU_DEP_1) | instskip(NEXT) | instid1(VALU_DEP_1)
	v_add_f64_e32 v[4:5], v[4:5], v[6:7]
	v_add_f64_e32 v[4:5], v[8:9], v[4:5]
	s_delay_alu instid0(VALU_DEP_1) | instskip(SKIP_1) | instid1(VALU_DEP_2)
	v_dual_cndmask_b32 v4, v4, v2 :: v_dual_cndmask_b32 v5, v5, v3
	v_cmp_ngt_f64_e32 vcc_lo, 0, v[2:3]
	v_cndmask_b32_e32 v5, 0x7ff80000, v5, vcc_lo
	v_cmp_nge_f64_e32 vcc_lo, 0, v[2:3]
	s_delay_alu instid0(VALU_DEP_4) | instskip(SKIP_1) | instid1(VALU_DEP_4)
	v_cndmask_b32_e32 v4, 0, v4, vcc_lo
	v_cmp_neq_f64_e32 vcc_lo, 0, v[2:3]
	v_cndmask_b32_e32 v5, 0xfff00000, v5, vcc_lo
	s_delay_alu instid0(VALU_DEP_1) | instskip(NEXT) | instid1(VALU_DEP_1)
	v_mul_f64_e32 v[2:3], v[98:99], v[4:5]
	v_div_scale_f64 v[4:5], null, v[18:19], v[18:19], v[2:3]
	s_delay_alu instid0(VALU_DEP_1) | instskip(SKIP_1) | instid1(TRANS32_DEP_1)
	v_rcp_f64_e32 v[6:7], v[4:5]
	v_nop
	v_fma_f64 v[8:9], -v[4:5], v[6:7], 1.0
	s_delay_alu instid0(VALU_DEP_1) | instskip(NEXT) | instid1(VALU_DEP_1)
	v_fmac_f64_e32 v[6:7], v[6:7], v[8:9]
	v_fma_f64 v[8:9], -v[4:5], v[6:7], 1.0
	s_delay_alu instid0(VALU_DEP_1) | instskip(SKIP_1) | instid1(VALU_DEP_1)
	v_fmac_f64_e32 v[6:7], v[6:7], v[8:9]
	v_div_scale_f64 v[8:9], vcc_lo, v[2:3], v[18:19], v[2:3]
	v_mul_f64_e32 v[12:13], v[8:9], v[6:7]
	s_delay_alu instid0(VALU_DEP_1) | instskip(SKIP_1) | instid1(VALU_DEP_2)
	v_fma_f64 v[4:5], -v[4:5], v[12:13], v[8:9]
	v_mov_b64_e32 v[8:9], 0x3ec71dee623fde64
	v_div_fmas_f64 v[4:5], v[4:5], v[6:7], v[12:13]
	v_mov_b64_e32 v[12:13], 0x3e928af3fca7ab0c
	v_cmp_nlt_f64_e32 vcc_lo, 0x40900000, v[20:21]
	v_mov_b64_e32 v[6:7], 0x3efa01997c89e6b0
	s_delay_alu instid0(VALU_DEP_4) | instskip(SKIP_2) | instid1(VALU_DEP_3)
	v_div_fixup_f64 v[14:15], v[4:5], v[18:19], v[2:3]
	v_mul_f64_e32 v[2:3], 0x3ff71547652b82fe, v[20:21]
	v_mov_b64_e32 v[4:5], 0x3f2a01a014761f6e
	v_add_f64_e64 v[68:69], v[0:1], -v[14:15]
	s_delay_alu instid0(VALU_DEP_3) | instskip(SKIP_1) | instid1(VALU_DEP_2)
	v_rndne_f64_e32 v[44:45], v[2:3]
	s_wait_loadcnt 0x4
	v_mul_f64_e32 v[54:55], v[78:79], v[68:69]
	s_delay_alu instid0(VALU_DEP_2) | instskip(SKIP_1) | instid1(VALU_DEP_2)
	v_fmamk_f64 v[82:83], v[44:45], 0xbfe62e42fefa39ef, v[20:21]
	v_cvt_i32_f64_e32 v10, v[44:45]
	v_fmac_f64_e32 v[82:83], 0xbc7abc9e3b39803f, v[44:45]
	s_delay_alu instid0(VALU_DEP_1) | instskip(NEXT) | instid1(VALU_DEP_1)
	v_fmamk_f64 v[2:3], v[82:83], 0x3e5ade156a5dcb37, v[12:13]
	v_fmaak_f64 v[2:3], v[82:83], v[2:3], 0x3ec71dee623fde64
	s_delay_alu instid0(VALU_DEP_1) | instskip(NEXT) | instid1(VALU_DEP_1)
	v_fmaak_f64 v[2:3], v[82:83], v[2:3], 0x3efa01997c89e6b0
	v_fmaak_f64 v[32:33], v[82:83], v[2:3], 0x3f2a01a014761f6e
	v_mov_b64_e32 v[2:3], 0x3f56c16c1852b7b0
	s_delay_alu instid0(VALU_DEP_2) | instskip(NEXT) | instid1(VALU_DEP_1)
	v_fmaak_f64 v[32:33], v[82:83], v[32:33], 0x3f56c16c1852b7b0
	v_fmaak_f64 v[32:33], v[82:83], v[32:33], 0x3f81111111122322
	s_delay_alu instid0(VALU_DEP_1) | instskip(NEXT) | instid1(VALU_DEP_1)
	v_fmaak_f64 v[32:33], v[82:83], v[32:33], 0x3fa55555555502a1
	v_fmaak_f64 v[110:111], v[82:83], v[32:33], 0x3fc5555555555511
	v_mov_b64_e32 v[32:33], 0x3fe000000000000b
	s_delay_alu instid0(VALU_DEP_2) | instskip(NEXT) | instid1(VALU_DEP_1)
	v_fmaak_f64 v[110:111], v[82:83], v[110:111], 0x3fe000000000000b
	v_fma_f64 v[110:111], v[82:83], v[110:111], 1.0
	s_delay_alu instid0(VALU_DEP_1) | instskip(NEXT) | instid1(VALU_DEP_1)
	v_fma_f64 v[82:83], v[82:83], v[110:111], 1.0
	v_ldexp_f64 v[44:45], v[82:83], v10
	s_delay_alu instid0(VALU_DEP_1)
	v_cndmask_b32_e32 v10, 0x7ff00000, v45, vcc_lo
	s_and_b32 vcc_lo, s0, vcc_lo
	s_delay_alu instid0(VALU_DEP_1) | instid1(SALU_CYCLE_1)
	v_dual_cndmask_b32 v20, 0, v44, vcc_lo :: v_dual_cndmask_b32 v21, 0, v10, s0
	scratch_load_b64 v[10:11], off, off offset:272 th:TH_LOAD_LU ; 8-byte Folded Reload
	v_fmamk_f64 v[44:45], v[20:21], 0x405059ef0e01dcc3, v[120:121]
	s_delay_alu instid0(VALU_DEP_1) | instskip(NEXT) | instid1(VALU_DEP_1)
	v_div_scale_f64 v[82:83], null, v[44:45], v[44:45], v[54:55]
	v_rcp_f64_e32 v[110:111], v[82:83]
	v_nop
	s_delay_alu instid0(TRANS32_DEP_1) | instskip(NEXT) | instid1(VALU_DEP_1)
	v_fma_f64 v[124:125], -v[82:83], v[110:111], 1.0
	v_fmac_f64_e32 v[110:111], v[110:111], v[124:125]
	s_delay_alu instid0(VALU_DEP_1) | instskip(NEXT) | instid1(VALU_DEP_1)
	v_fma_f64 v[124:125], -v[82:83], v[110:111], 1.0
	v_fmac_f64_e32 v[110:111], v[110:111], v[124:125]
	v_div_scale_f64 v[124:125], vcc_lo, v[54:55], v[44:45], v[54:55]
	s_delay_alu instid0(VALU_DEP_1) | instskip(NEXT) | instid1(VALU_DEP_1)
	v_mul_f64_e32 v[72:73], v[124:125], v[110:111]
	v_fma_f64 v[82:83], -v[82:83], v[72:73], v[124:125]
	s_delay_alu instid0(VALU_DEP_1) | instskip(NEXT) | instid1(VALU_DEP_1)
	v_div_fmas_f64 v[72:73], v[82:83], v[110:111], v[72:73]
	v_div_fixup_f64 v[82:83], v[72:73], v[44:45], v[54:55]
	s_wait_loadcnt 0x2
	v_mul_f64_e32 v[54:55], v[70:71], v[68:69]
	s_wait_loadcnt 0x0
	v_fma_f64 v[72:73], v[10:11], v[80:81], v[74:75]
	s_delay_alu instid0(VALU_DEP_2) | instskip(SKIP_1) | instid1(VALU_DEP_1)
	v_mul_f64_e32 v[110:111], v[92:93], v[54:55]
	v_fma_f64 v[54:55], v[40:41], v[10:11], v[16:17]
	v_div_scale_f64 v[80:81], null, v[54:55], v[54:55], v[72:73]
	s_delay_alu instid0(VALU_DEP_1) | instskip(SKIP_1) | instid1(TRANS32_DEP_1)
	v_rcp_f64_e32 v[124:125], v[80:81]
	v_nop
	v_fma_f64 v[48:49], -v[80:81], v[124:125], 1.0
	s_delay_alu instid0(VALU_DEP_1) | instskip(NEXT) | instid1(VALU_DEP_1)
	v_fmac_f64_e32 v[124:125], v[124:125], v[48:49]
	v_fma_f64 v[48:49], -v[80:81], v[124:125], 1.0
	s_delay_alu instid0(VALU_DEP_1) | instskip(SKIP_1) | instid1(VALU_DEP_1)
	v_fmac_f64_e32 v[124:125], v[124:125], v[48:49]
	v_div_scale_f64 v[48:49], vcc_lo, v[72:73], v[54:55], v[72:73]
	v_mul_f64_e32 v[50:51], v[48:49], v[124:125]
	s_delay_alu instid0(VALU_DEP_1) | instskip(NEXT) | instid1(VALU_DEP_1)
	v_fma_f64 v[48:49], -v[80:81], v[50:51], v[48:49]
	v_div_fmas_f64 v[48:49], v[48:49], v[124:125], v[50:51]
	s_delay_alu instid0(VALU_DEP_1) | instskip(NEXT) | instid1(VALU_DEP_1)
	v_div_fixup_f64 v[124:125], v[48:49], v[54:55], v[72:73]
	v_frexp_mant_f64_e32 v[48:49], v[124:125]
	v_frexp_exp_i32_f64_e32 v10, v[124:125]
	s_delay_alu instid0(VALU_DEP_2) | instskip(SKIP_2) | instid1(VALU_DEP_3)
	v_cmp_gt_f64_e32 vcc_lo, s[2:3], v[48:49]
	s_mov_b64 s[2:3], 0x3faeb851eb851eb8
	v_cndmask_b32_e64 v11, 0, 1, vcc_lo
	v_subrev_co_ci_u32_e64 v34, null, 0, v10, vcc_lo
	v_cmp_class_f64_e64 vcc_lo, v[124:125], 0x204
	s_delay_alu instid0(VALU_DEP_3) | instskip(NEXT) | instid1(VALU_DEP_1)
	v_ldexp_f64 v[48:49], v[48:49], v11
	v_add_f64_e32 v[72:73], 1.0, v[48:49]
	v_add_f64_e32 v[50:51], -1.0, v[48:49]
	s_delay_alu instid0(VALU_DEP_2) | instskip(NEXT) | instid1(VALU_DEP_1)
	v_add_f64_e32 v[80:81], -1.0, v[72:73]
	v_add_f64_e64 v[48:49], v[48:49], -v[80:81]
	v_rcp_f64_e32 v[80:81], v[72:73]
	v_nop
	s_delay_alu instid0(TRANS32_DEP_1) | instskip(NEXT) | instid1(VALU_DEP_1)
	v_fma_f64 v[52:53], -v[72:73], v[80:81], 1.0
	v_fmac_f64_e32 v[80:81], v[52:53], v[80:81]
	s_delay_alu instid0(VALU_DEP_1) | instskip(NEXT) | instid1(VALU_DEP_1)
	v_fma_f64 v[52:53], -v[72:73], v[80:81], 1.0
	v_fmac_f64_e32 v[80:81], v[52:53], v[80:81]
	s_delay_alu instid0(VALU_DEP_1) | instskip(NEXT) | instid1(VALU_DEP_1)
	v_mul_f64_e32 v[52:53], v[50:51], v[80:81]
	v_mul_f64_e32 v[16:17], v[72:73], v[52:53]
	s_delay_alu instid0(VALU_DEP_1) | instskip(NEXT) | instid1(VALU_DEP_1)
	v_fma_f64 v[72:73], v[52:53], v[72:73], -v[16:17]
	v_fmac_f64_e32 v[72:73], v[52:53], v[48:49]
	s_delay_alu instid0(VALU_DEP_1) | instskip(NEXT) | instid1(VALU_DEP_1)
	v_add_f64_e32 v[48:49], v[16:17], v[72:73]
	v_add_f64_e64 v[10:11], v[50:51], -v[48:49]
	v_add_f64_e64 v[16:17], v[48:49], -v[16:17]
	s_delay_alu instid0(VALU_DEP_2) | instskip(NEXT) | instid1(VALU_DEP_2)
	v_add_f64_e64 v[50:51], v[50:51], -v[10:11]
	v_add_f64_e64 v[16:17], v[16:17], -v[72:73]
	s_delay_alu instid0(VALU_DEP_2) | instskip(NEXT) | instid1(VALU_DEP_1)
	v_add_f64_e64 v[48:49], v[50:51], -v[48:49]
	v_add_f64_e32 v[16:17], v[16:17], v[48:49]
	s_delay_alu instid0(VALU_DEP_1) | instskip(NEXT) | instid1(VALU_DEP_1)
	v_add_f64_e32 v[10:11], v[10:11], v[16:17]
	v_mul_f64_e32 v[10:11], v[80:81], v[10:11]
	s_delay_alu instid0(VALU_DEP_1) | instskip(NEXT) | instid1(VALU_DEP_1)
	v_add_f64_e32 v[16:17], v[52:53], v[10:11]
	v_add_f64_e64 v[48:49], v[16:17], -v[52:53]
	s_delay_alu instid0(VALU_DEP_1) | instskip(SKIP_1) | instid1(VALU_DEP_2)
	v_add_f64_e64 v[10:11], v[10:11], -v[48:49]
	v_mul_f64_e32 v[48:49], v[16:17], v[16:17]
	v_ldexp_f64 v[10:11], v[10:11], 1
	s_delay_alu instid0(VALU_DEP_2) | instskip(NEXT) | instid1(VALU_DEP_1)
	v_fmac_f64_e32 v[116:117], 0x3fc3ab76bf559e2b, v[48:49]
	v_fmac_f64_e32 v[106:107], v[48:49], v[116:117]
	s_delay_alu instid0(VALU_DEP_1) | instskip(NEXT) | instid1(VALU_DEP_1)
	v_fmac_f64_e32 v[30:31], v[48:49], v[106:107]
	v_fmac_f64_e32 v[58:59], v[48:49], v[30:31]
	v_ldexp_f64 v[30:31], v[16:17], 1
	v_mul_f64_e32 v[16:17], v[16:17], v[48:49]
	s_delay_alu instid0(VALU_DEP_3) | instskip(NEXT) | instid1(VALU_DEP_1)
	v_fmac_f64_e32 v[76:77], v[48:49], v[58:59]
	v_fmac_f64_e32 v[46:47], v[48:49], v[76:77]
	s_delay_alu instid0(VALU_DEP_1) | instskip(NEXT) | instid1(VALU_DEP_1)
	v_mul_f64_e32 v[16:17], v[16:17], v[46:47]
	v_add_f64_e32 v[46:47], v[30:31], v[16:17]
	s_delay_alu instid0(VALU_DEP_1) | instskip(NEXT) | instid1(VALU_DEP_1)
	v_add_f64_e64 v[30:31], v[46:47], -v[30:31]
	v_add_f64_e64 v[16:17], v[16:17], -v[30:31]
	s_delay_alu instid0(VALU_DEP_1) | instskip(NEXT) | instid1(VALU_DEP_1)
	v_add_f64_e32 v[10:11], v[10:11], v[16:17]
	v_add_f64_e32 v[16:17], v[46:47], v[10:11]
	s_delay_alu instid0(VALU_DEP_1) | instskip(NEXT) | instid1(VALU_DEP_1)
	v_add_f64_e64 v[30:31], v[16:17], -v[46:47]
	v_add_f64_e64 v[30:31], v[10:11], -v[30:31]
	v_cvt_f64_i32_e32 v[10:11], v34
	scratch_load_b64 v[34:35], off, off offset:184 th:TH_LOAD_LU ; 8-byte Folded Reload
	v_mul_f64_e32 v[46:47], 0x3fe62e42fefa39ef, v[10:11]
	s_delay_alu instid0(VALU_DEP_1) | instskip(NEXT) | instid1(VALU_DEP_1)
	v_fma_f64 v[48:49], v[10:11], s[4:5], -v[46:47]
	v_fmac_f64_e32 v[48:49], 0x3c7abc9e3b39803f, v[10:11]
	s_delay_alu instid0(VALU_DEP_1) | instskip(NEXT) | instid1(VALU_DEP_1)
	v_add_f64_e32 v[10:11], v[46:47], v[48:49]
	v_add_f64_e64 v[46:47], v[10:11], -v[46:47]
	s_delay_alu instid0(VALU_DEP_1) | instskip(SKIP_1) | instid1(VALU_DEP_1)
	v_add_f64_e64 v[46:47], v[48:49], -v[46:47]
	v_add_f64_e32 v[48:49], v[10:11], v[16:17]
	v_add_f64_e64 v[50:51], v[48:49], -v[10:11]
	s_delay_alu instid0(VALU_DEP_1) | instskip(SKIP_1) | instid1(VALU_DEP_2)
	v_add_f64_e64 v[52:53], v[48:49], -v[50:51]
	v_add_f64_e64 v[16:17], v[16:17], -v[50:51]
	;; [unrolled: 1-line block ×3, first 2 shown]
	s_delay_alu instid0(VALU_DEP_1) | instskip(SKIP_1) | instid1(VALU_DEP_1)
	v_add_f64_e32 v[10:11], v[16:17], v[10:11]
	v_add_f64_e32 v[16:17], v[46:47], v[30:31]
	v_add_f64_e64 v[50:51], v[16:17], -v[46:47]
	s_delay_alu instid0(VALU_DEP_3) | instskip(NEXT) | instid1(VALU_DEP_2)
	v_add_f64_e32 v[10:11], v[16:17], v[10:11]
	v_add_f64_e64 v[52:53], v[16:17], -v[50:51]
	v_add_f64_e64 v[30:31], v[30:31], -v[50:51]
	s_delay_alu instid0(VALU_DEP_3) | instskip(NEXT) | instid1(VALU_DEP_3)
	v_add_f64_e32 v[16:17], v[48:49], v[10:11]
	v_add_f64_e64 v[46:47], v[46:47], -v[52:53]
	s_delay_alu instid0(VALU_DEP_1) | instskip(NEXT) | instid1(VALU_DEP_3)
	v_add_f64_e32 v[30:31], v[30:31], v[46:47]
	v_add_f64_e64 v[46:47], v[16:17], -v[48:49]
	s_delay_alu instid0(VALU_DEP_1) | instskip(NEXT) | instid1(VALU_DEP_1)
	v_add_f64_e64 v[10:11], v[10:11], -v[46:47]
	v_add_f64_e32 v[10:11], v[30:31], v[10:11]
	s_delay_alu instid0(VALU_DEP_1) | instskip(SKIP_3) | instid1(VALU_DEP_2)
	v_add_f64_e32 v[10:11], v[16:17], v[10:11]
	scratch_load_b64 v[16:17], off, off offset:264 th:TH_LOAD_LU ; 8-byte Folded Reload
	v_dual_cndmask_b32 v10, v10, v124 :: v_dual_cndmask_b32 v11, v11, v125
	v_cmp_ngt_f64_e32 vcc_lo, 0, v[124:125]
	v_cndmask_b32_e32 v11, 0x7ff80000, v11, vcc_lo
	v_cmp_nge_f64_e32 vcc_lo, 0, v[124:125]
	s_delay_alu instid0(VALU_DEP_4) | instskip(SKIP_1) | instid1(VALU_DEP_4)
	v_cndmask_b32_e32 v10, 0, v10, vcc_lo
	v_cmp_neq_f64_e32 vcc_lo, 0, v[124:125]
	v_cndmask_b32_e32 v11, 0xfff00000, v11, vcc_lo
	s_delay_alu instid0(VALU_DEP_1) | instskip(SKIP_2) | instid1(VALU_DEP_2)
	v_mul_f64_e32 v[10:11], v[98:99], v[10:11]
	s_wait_loadcnt 0x0
	v_mul_f64_e32 v[58:59], v[16:17], v[16:17]
	v_div_scale_f64 v[16:17], null, v[18:19], v[18:19], v[10:11]
	s_delay_alu instid0(VALU_DEP_1) | instskip(SKIP_1) | instid1(TRANS32_DEP_1)
	v_rcp_f64_e32 v[30:31], v[16:17]
	v_nop
	v_fma_f64 v[46:47], -v[16:17], v[30:31], 1.0
	s_delay_alu instid0(VALU_DEP_1) | instskip(NEXT) | instid1(VALU_DEP_1)
	v_fmac_f64_e32 v[30:31], v[30:31], v[46:47]
	v_fma_f64 v[46:47], -v[16:17], v[30:31], 1.0
	s_delay_alu instid0(VALU_DEP_1) | instskip(SKIP_1) | instid1(VALU_DEP_1)
	v_fmac_f64_e32 v[30:31], v[30:31], v[46:47]
	v_div_scale_f64 v[46:47], vcc_lo, v[10:11], v[18:19], v[10:11]
	v_mul_f64_e32 v[48:49], v[46:47], v[30:31]
	s_delay_alu instid0(VALU_DEP_1) | instskip(NEXT) | instid1(VALU_DEP_1)
	v_fma_f64 v[16:17], -v[16:17], v[48:49], v[46:47]
	v_div_fmas_f64 v[16:17], v[16:17], v[30:31], v[48:49]
	s_delay_alu instid0(VALU_DEP_1) | instskip(NEXT) | instid1(VALU_DEP_1)
	v_div_fixup_f64 v[10:11], v[16:17], v[18:19], v[10:11]
	v_add_f64_e64 v[116:117], v[0:1], -v[10:11]
	v_mul_f64_e32 v[10:11], 0x3faeb851eb851eb8, v[14:15]
	s_delay_alu instid0(VALU_DEP_1) | instskip(SKIP_1) | instid1(VALU_DEP_1)
	v_fma_f64 v[10:11], v[0:1], s[2:3], -v[10:11]
	s_mov_b64 s[2:3], 0x3fb999999999999a
	v_mul_f64_e32 v[16:17], 0x3ff71547652b82fe, v[10:11]
	v_cmp_nlt_f64_e32 vcc_lo, 0x40900000, v[10:11]
	v_cmp_ngt_f64_e64 s0, 0xc090cc00, v[10:11]
	s_delay_alu instid0(VALU_DEP_3) | instskip(NEXT) | instid1(VALU_DEP_1)
	v_rndne_f64_e32 v[16:17], v[16:17]
	v_fmamk_f64 v[30:31], v[16:17], 0xbfe62e42fefa39ef, v[10:11]
	s_delay_alu instid0(VALU_DEP_1) | instskip(SKIP_1) | instid1(VALU_DEP_2)
	v_fmac_f64_e32 v[30:31], 0xbc7abc9e3b39803f, v[16:17]
	v_cvt_i32_f64_e32 v16, v[16:17]
	v_fmamk_f64 v[46:47], v[30:31], 0x3e5ade156a5dcb37, v[12:13]
	s_delay_alu instid0(VALU_DEP_1) | instskip(NEXT) | instid1(VALU_DEP_1)
	v_fmaak_f64 v[46:47], v[30:31], v[46:47], 0x3ec71dee623fde64
	v_fmaak_f64 v[46:47], v[30:31], v[46:47], 0x3efa01997c89e6b0
	s_delay_alu instid0(VALU_DEP_1) | instskip(NEXT) | instid1(VALU_DEP_1)
	v_fmaak_f64 v[46:47], v[30:31], v[46:47], 0x3f2a01a014761f6e
	v_fmaak_f64 v[46:47], v[30:31], v[46:47], 0x3f56c16c1852b7b0
	;; [unrolled: 3-line block ×4, first 2 shown]
	s_delay_alu instid0(VALU_DEP_1) | instskip(NEXT) | instid1(VALU_DEP_1)
	v_fma_f64 v[46:47], v[30:31], v[46:47], 1.0
	v_fma_f64 v[30:31], v[30:31], v[46:47], 1.0
	s_delay_alu instid0(VALU_DEP_1) | instskip(NEXT) | instid1(VALU_DEP_1)
	v_ldexp_f64 v[16:17], v[30:31], v16
	v_cndmask_b32_e32 v17, 0x7ff00000, v17, vcc_lo
	s_and_b32 vcc_lo, s0, vcc_lo
	s_delay_alu instid0(VALU_DEP_1) | instid1(SALU_CYCLE_1)
	v_dual_cndmask_b32 v30, 0, v16, vcc_lo :: v_dual_cndmask_b32 v31, 0, v17, s0
	s_delay_alu instid0(VALU_DEP_1) | instskip(NEXT) | instid1(VALU_DEP_1)
	v_fmamk_f64 v[46:47], v[30:31], 0x3ed9c54c3b43bc8b, v[120:121]
	v_div_scale_f64 v[10:11], null, v[46:47], v[46:47], s[2:3]
	s_delay_alu instid0(VALU_DEP_1) | instskip(SKIP_1) | instid1(TRANS32_DEP_1)
	v_rcp_f64_e32 v[16:17], v[10:11]
	v_nop
	v_fma_f64 v[48:49], -v[10:11], v[16:17], 1.0
	s_delay_alu instid0(VALU_DEP_1) | instskip(NEXT) | instid1(VALU_DEP_1)
	v_fmac_f64_e32 v[16:17], v[16:17], v[48:49]
	v_fma_f64 v[48:49], -v[10:11], v[16:17], 1.0
	s_delay_alu instid0(VALU_DEP_1) | instskip(SKIP_1) | instid1(VALU_DEP_1)
	v_fmac_f64_e32 v[16:17], v[16:17], v[48:49]
	v_div_scale_f64 v[48:49], vcc_lo, s[2:3], v[46:47], s[2:3]
	v_mul_f64_e32 v[50:51], v[48:49], v[16:17]
	s_delay_alu instid0(VALU_DEP_1) | instskip(NEXT) | instid1(VALU_DEP_1)
	v_fma_f64 v[10:11], -v[10:11], v[50:51], v[48:49]
	v_div_fmas_f64 v[10:11], v[10:11], v[16:17], v[50:51]
	s_delay_alu instid0(VALU_DEP_1) | instskip(SKIP_1) | instid1(VALU_DEP_1)
	v_div_fixup_f64 v[106:107], v[10:11], v[46:47], s[2:3]
	v_mul_f64_e32 v[10:11], 0x3fb999999999999a, v[14:15]
	v_fma_f64 v[10:11], v[0:1], s[2:3], -v[10:11]
	s_mov_b64 s[2:3], 0x3f2a36e2eb1c432d
	s_delay_alu instid0(VALU_DEP_1) | instskip(SKIP_2) | instid1(VALU_DEP_3)
	v_mul_f64_e32 v[16:17], 0x3ff71547652b82fe, v[10:11]
	v_cmp_nlt_f64_e32 vcc_lo, 0x40900000, v[10:11]
	v_cmp_ngt_f64_e64 s0, 0xc090cc00, v[10:11]
	v_rndne_f64_e32 v[16:17], v[16:17]
	s_delay_alu instid0(VALU_DEP_1) | instskip(SKIP_1) | instid1(VALU_DEP_2)
	v_fmamk_f64 v[48:49], v[16:17], 0xbfe62e42fefa39ef, v[10:11]
	v_mul_f64_e32 v[10:11], 0x3f2a36e2eb1c432d, v[14:15]
	v_fmac_f64_e32 v[48:49], 0xbc7abc9e3b39803f, v[16:17]
	v_cvt_i32_f64_e32 v16, v[16:17]
	s_delay_alu instid0(VALU_DEP_3) | instskip(SKIP_1) | instid1(VALU_DEP_3)
	v_fma_f64 v[10:11], v[0:1], s[2:3], -v[10:11]
	s_mov_b64 s[2:3], 0x3e45798ee2308c3a
	v_fmamk_f64 v[50:51], v[48:49], 0x3e5ade156a5dcb37, v[12:13]
	s_delay_alu instid0(VALU_DEP_1) | instskip(NEXT) | instid1(VALU_DEP_1)
	v_fmaak_f64 v[50:51], v[48:49], v[50:51], 0x3ec71dee623fde64
	v_fmaak_f64 v[50:51], v[48:49], v[50:51], 0x3efa01997c89e6b0
	s_delay_alu instid0(VALU_DEP_1) | instskip(NEXT) | instid1(VALU_DEP_1)
	v_fmaak_f64 v[50:51], v[48:49], v[50:51], 0x3f2a01a014761f6e
	v_fmaak_f64 v[50:51], v[48:49], v[50:51], 0x3f56c16c1852b7b0
	;; [unrolled: 3-line block ×4, first 2 shown]
	s_delay_alu instid0(VALU_DEP_1) | instskip(NEXT) | instid1(VALU_DEP_1)
	v_fma_f64 v[50:51], v[48:49], v[50:51], 1.0
	v_fma_f64 v[48:49], v[48:49], v[50:51], 1.0
	s_delay_alu instid0(VALU_DEP_1) | instskip(NEXT) | instid1(VALU_DEP_1)
	v_ldexp_f64 v[16:17], v[48:49], v16
	v_cndmask_b32_e32 v17, 0x7ff00000, v17, vcc_lo
	s_and_b32 vcc_lo, s0, vcc_lo
	s_delay_alu instid0(VALU_DEP_2) | instskip(SKIP_1) | instid1(VALU_DEP_3)
	v_cndmask_b32_e32 v120, 0, v16, vcc_lo
	v_cmp_nlt_f64_e32 vcc_lo, 0x40900000, v[10:11]
	v_cndmask_b32_e64 v121, 0, v17, s0
	v_mul_f64_e32 v[16:17], 0x3ff71547652b82fe, v[10:11]
	v_cmp_ngt_f64_e64 s0, 0xc090cc00, v[10:11]
	s_delay_alu instid0(VALU_DEP_2) | instskip(NEXT) | instid1(VALU_DEP_1)
	v_rndne_f64_e32 v[16:17], v[16:17]
	v_fmamk_f64 v[48:49], v[16:17], 0xbfe62e42fefa39ef, v[10:11]
	s_delay_alu instid0(VALU_DEP_1) | instskip(SKIP_1) | instid1(VALU_DEP_2)
	v_fmac_f64_e32 v[48:49], 0xbc7abc9e3b39803f, v[16:17]
	v_cvt_i32_f64_e32 v16, v[16:17]
	v_fmamk_f64 v[50:51], v[48:49], 0x3e5ade156a5dcb37, v[12:13]
	s_delay_alu instid0(VALU_DEP_1) | instskip(NEXT) | instid1(VALU_DEP_1)
	v_fmaak_f64 v[50:51], v[48:49], v[50:51], 0x3ec71dee623fde64
	v_fmaak_f64 v[50:51], v[48:49], v[50:51], 0x3efa01997c89e6b0
	s_delay_alu instid0(VALU_DEP_1) | instskip(NEXT) | instid1(VALU_DEP_1)
	v_fmaak_f64 v[50:51], v[48:49], v[50:51], 0x3f2a01a014761f6e
	v_fmaak_f64 v[50:51], v[48:49], v[50:51], 0x3f56c16c1852b7b0
	;; [unrolled: 3-line block ×4, first 2 shown]
	s_delay_alu instid0(VALU_DEP_1) | instskip(NEXT) | instid1(VALU_DEP_1)
	v_fma_f64 v[50:51], v[48:49], v[50:51], 1.0
	v_fma_f64 v[48:49], v[48:49], v[50:51], 1.0
	s_delay_alu instid0(VALU_DEP_1) | instskip(NEXT) | instid1(VALU_DEP_1)
	v_ldexp_f64 v[16:17], v[48:49], v16
	v_cndmask_b32_e32 v17, 0x7ff00000, v17, vcc_lo
	s_and_b32 vcc_lo, s0, vcc_lo
	s_delay_alu instid0(VALU_DEP_1) | instid1(SALU_CYCLE_1)
	v_dual_cndmask_b32 v124, 0, v16, vcc_lo :: v_dual_cndmask_b32 v125, 0, v17, s0
	s_delay_alu instid0(VALU_DEP_1) | instskip(NEXT) | instid1(VALU_DEP_1)
	v_mul_f64_e32 v[10:11], 0x40087c1df5e201d1, v[124:125]
	v_fmamk_f64 v[76:77], v[120:121], 0x3fd78b56362cef32, v[10:11]
	v_mul_f64_e32 v[10:11], 0.5, v[0:1]
	s_delay_alu instid0(VALU_DEP_1) | instskip(NEXT) | instid1(VALU_DEP_1)
	v_fma_f64 v[14:15], v[14:15], 0.5, -v[10:11]
	v_mul_f64_e32 v[10:11], 0x3ff71547652b82fe, v[14:15]
	v_cmp_nlt_f64_e32 vcc_lo, 0x40900000, v[14:15]
	v_cmp_ngt_f64_e64 s0, 0xc090cc00, v[14:15]
	s_delay_alu instid0(VALU_DEP_3) | instskip(NEXT) | instid1(VALU_DEP_1)
	v_rndne_f64_e32 v[10:11], v[10:11]
	v_fmamk_f64 v[16:17], v[10:11], 0xbfe62e42fefa39ef, v[14:15]
	s_delay_alu instid0(VALU_DEP_1) | instskip(NEXT) | instid1(VALU_DEP_1)
	v_fmac_f64_e32 v[16:17], 0xbc7abc9e3b39803f, v[10:11]
	v_fmac_f64_e32 v[12:13], 0x3e5ade156a5dcb37, v[16:17]
	s_delay_alu instid0(VALU_DEP_1) | instskip(NEXT) | instid1(VALU_DEP_1)
	v_fmac_f64_e32 v[8:9], v[16:17], v[12:13]
	v_fmac_f64_e32 v[6:7], v[16:17], v[8:9]
	;; [unrolled: 3-line block ×3, first 2 shown]
	v_cvt_i32_f64_e32 v4, v[10:11]
	s_delay_alu instid0(VALU_DEP_2) | instskip(NEXT) | instid1(VALU_DEP_1)
	v_fmac_f64_e32 v[88:89], v[16:17], v[2:3]
	v_fmac_f64_e32 v[66:67], v[16:17], v[88:89]
	s_delay_alu instid0(VALU_DEP_1) | instskip(NEXT) | instid1(VALU_DEP_1)
	v_fmac_f64_e32 v[38:39], v[16:17], v[66:67]
	v_fmac_f64_e32 v[32:33], v[16:17], v[38:39]
	s_delay_alu instid0(VALU_DEP_1) | instskip(NEXT) | instid1(VALU_DEP_1)
	v_fma_f64 v[2:3], v[16:17], v[32:33], 1.0
	v_fma_f64 v[2:3], v[16:17], v[2:3], 1.0
	s_delay_alu instid0(VALU_DEP_1) | instskip(NEXT) | instid1(VALU_DEP_1)
	v_ldexp_f64 v[2:3], v[2:3], v4
	v_cndmask_b32_e32 v3, 0x7ff00000, v3, vcc_lo
	s_and_b32 vcc_lo, s0, vcc_lo
	s_delay_alu instid0(VALU_DEP_1) | instid1(SALU_CYCLE_1)
	v_dual_cndmask_b32 v8, 0, v2, vcc_lo :: v_dual_cndmask_b32 v9, 0, v3, s0
	s_delay_alu instid0(VALU_DEP_1) | instskip(NEXT) | instid1(VALU_DEP_1)
	v_add_f64_e32 v[32:33], 1.0, v[8:9]
	v_div_scale_f64 v[2:3], null, v[32:33], v[32:33], v[76:77]
	s_delay_alu instid0(VALU_DEP_1) | instskip(SKIP_1) | instid1(TRANS32_DEP_1)
	v_rcp_f64_e32 v[4:5], v[2:3]
	v_nop
	v_fma_f64 v[6:7], -v[2:3], v[4:5], 1.0
	s_delay_alu instid0(VALU_DEP_1) | instskip(NEXT) | instid1(VALU_DEP_1)
	v_fmac_f64_e32 v[4:5], v[4:5], v[6:7]
	v_fma_f64 v[6:7], -v[2:3], v[4:5], 1.0
	s_delay_alu instid0(VALU_DEP_1) | instskip(SKIP_1) | instid1(VALU_DEP_1)
	v_fmac_f64_e32 v[4:5], v[4:5], v[6:7]
	v_div_scale_f64 v[6:7], vcc_lo, v[76:77], v[32:33], v[76:77]
	v_mul_f64_e32 v[10:11], v[6:7], v[4:5]
	s_delay_alu instid0(VALU_DEP_1) | instskip(NEXT) | instid1(VALU_DEP_1)
	v_fma_f64 v[2:3], -v[2:3], v[10:11], v[6:7]
	v_div_fmas_f64 v[2:3], v[2:3], v[4:5], v[10:11]
	s_delay_alu instid0(VALU_DEP_1) | instskip(NEXT) | instid1(VALU_DEP_1)
	v_div_fixup_f64 v[2:3], v[2:3], v[32:33], v[76:77]
	v_add_f64_e32 v[6:7], v[106:107], v[2:3]
	s_delay_alu instid0(VALU_DEP_1) | instskip(NEXT) | instid1(VALU_DEP_1)
	v_div_scale_f64 v[2:3], null, v[6:7], v[6:7], v[106:107]
	v_rcp_f64_e32 v[4:5], v[2:3]
	v_nop
	s_delay_alu instid0(TRANS32_DEP_1) | instskip(NEXT) | instid1(VALU_DEP_1)
	v_fma_f64 v[10:11], -v[2:3], v[4:5], 1.0
	v_fmac_f64_e32 v[4:5], v[4:5], v[10:11]
	s_delay_alu instid0(VALU_DEP_1) | instskip(NEXT) | instid1(VALU_DEP_1)
	v_fma_f64 v[10:11], -v[2:3], v[4:5], 1.0
	v_fmac_f64_e32 v[4:5], v[4:5], v[10:11]
	v_div_scale_f64 v[10:11], vcc_lo, v[106:107], v[6:7], v[106:107]
	s_delay_alu instid0(VALU_DEP_1) | instskip(NEXT) | instid1(VALU_DEP_1)
	v_mul_f64_e32 v[12:13], v[10:11], v[4:5]
	v_fma_f64 v[2:3], -v[2:3], v[12:13], v[10:11]
	s_delay_alu instid0(VALU_DEP_1) | instskip(SKIP_1) | instid1(VALU_DEP_2)
	v_div_fmas_f64 v[2:3], v[2:3], v[4:5], v[12:13]
	v_cmp_gt_f64_e32 vcc_lo, 0x10000000, v[74:75]
	v_div_fixup_f64 v[66:67], v[2:3], v[6:7], v[106:107]
	scratch_load_b64 v[2:3], off, off offset:248 th:TH_LOAD_LU ; 8-byte Folded Reload
	v_cndmask_b32_e64 v4, 0, 0x100, vcc_lo
	s_delay_alu instid0(VALU_DEP_1) | instskip(NEXT) | instid1(VALU_DEP_1)
	v_ldexp_f64 v[4:5], v[74:75], v4
	v_rsq_f64_e32 v[10:11], v[4:5]
	v_nop
	s_delay_alu instid0(TRANS32_DEP_1) | instskip(SKIP_1) | instid1(VALU_DEP_1)
	v_mul_f64_e32 v[12:13], v[4:5], v[10:11]
	v_mul_f64_e32 v[10:11], 0.5, v[10:11]
	v_fma_f64 v[14:15], -v[10:11], v[12:13], 0.5
	s_delay_alu instid0(VALU_DEP_1) | instskip(SKIP_1) | instid1(VALU_DEP_2)
	v_fmac_f64_e32 v[12:13], v[12:13], v[14:15]
	v_fmac_f64_e32 v[10:11], v[10:11], v[14:15]
	v_fma_f64 v[16:17], -v[12:13], v[12:13], v[4:5]
	s_delay_alu instid0(VALU_DEP_1) | instskip(SKIP_3) | instid1(VALU_DEP_1)
	v_fmac_f64_e32 v[12:13], v[16:17], v[10:11]
	scratch_load_b64 v[16:17], off, off offset:240 th:TH_LOAD_LU ; 8-byte Folded Reload
	v_mul_f64_e32 v[80:81], v[58:59], v[96:97]
	v_fma_f64 v[14:15], -v[12:13], v[12:13], v[4:5]
	v_fmac_f64_e32 v[12:13], v[14:15], v[10:11]
	v_cndmask_b32_e64 v10, 0, 0xffffff80, vcc_lo
	v_cmp_class_f64_e64 vcc_lo, v[4:5], 0x260
	s_delay_alu instid0(VALU_DEP_2) | instskip(SKIP_2) | instid1(VALU_DEP_2)
	v_ldexp_f64 v[10:11], v[12:13], v10
	s_wait_loadcnt 0x1
	v_mul_f64_e32 v[2:3], 0x3fdb8a8d0f62f0be, v[2:3]
	v_dual_cndmask_b32 v5, v11, v5 :: v_dual_cndmask_b32 v4, v10, v4
	s_delay_alu instid0(VALU_DEP_1) | instskip(SKIP_4) | instid1(VALU_DEP_1)
	v_mul_f64_e32 v[12:13], v[2:3], v[4:5]
	scratch_load_b64 v[2:3], off, off offset:256 th:TH_LOAD_LU ; 8-byte Folded Reload
	v_mul_f64_e32 v[74:75], v[12:13], v[68:69]
	s_wait_loadcnt 0x0
	v_mul_f64_e32 v[2:3], 0x3fdb8a8d0f62f0be, v[2:3]
	v_mul_f64_e32 v[88:89], v[2:3], v[4:5]
	s_delay_alu instid0(VALU_DEP_1) | instskip(NEXT) | instid1(VALU_DEP_1)
	v_mul_f64_e32 v[2:3], v[88:89], v[68:69]
	v_mul_f64_e32 v[38:39], v[34:35], v[2:3]
	v_add_f64_e32 v[2:3], v[40:41], v[60:61]
	global_store_b64 v[126:127], v[2:3], off
	s_wait_xcnt 0x0
	v_div_scale_f64 v[2:3], null, v[16:17], v[16:17], s[10:11]
	s_delay_alu instid0(VALU_DEP_1) | instskip(SKIP_1) | instid1(TRANS32_DEP_1)
	v_rcp_f64_e32 v[4:5], v[2:3]
	v_nop
	v_fma_f64 v[10:11], -v[2:3], v[4:5], 1.0
	s_delay_alu instid0(VALU_DEP_1) | instskip(NEXT) | instid1(VALU_DEP_1)
	v_fmac_f64_e32 v[4:5], v[4:5], v[10:11]
	v_fma_f64 v[10:11], -v[2:3], v[4:5], 1.0
	s_delay_alu instid0(VALU_DEP_1) | instskip(SKIP_1) | instid1(VALU_DEP_1)
	v_fmac_f64_e32 v[4:5], v[4:5], v[10:11]
	v_div_scale_f64 v[10:11], vcc_lo, s[10:11], v[16:17], s[10:11]
	v_mul_f64_e32 v[14:15], v[10:11], v[4:5]
	s_delay_alu instid0(VALU_DEP_1) | instskip(NEXT) | instid1(VALU_DEP_1)
	v_fma_f64 v[2:3], -v[2:3], v[14:15], v[10:11]
	v_div_fmas_f64 v[2:3], v[2:3], v[4:5], v[14:15]
	s_clause 0x1
	scratch_load_b64 v[4:5], off, off offset:224 th:TH_LOAD_LU
	scratch_load_b64 v[10:11], off, off offset:232 th:TH_LOAD_LU
	v_div_fixup_f64 v[2:3], v[2:3], v[16:17], s[10:11]
	s_delay_alu instid0(VALU_DEP_1) | instskip(NEXT) | instid1(VALU_DEP_1)
	v_floor_f64_e32 v[2:3], v[2:3]
	v_fma_f64 v[2:3], -v[16:17], v[2:3], s[10:11]
	s_wait_loadcnt 0x0
	v_add_f64_e32 v[4:5], v[4:5], v[10:11]
	s_delay_alu instid0(VALU_DEP_2) | instskip(NEXT) | instid1(VALU_DEP_2)
	v_cmp_nge_f64_e64 s0, v[2:3], v[10:11]
	v_cmp_nle_f64_e32 vcc_lo, v[2:3], v[4:5]
	scratch_load_b64 v[4:5], off, off offset:216 th:TH_LOAD_LU ; 8-byte Folded Reload
	s_or_b32 s0, vcc_lo, s0
	s_wait_loadcnt 0x0
	v_xor_b32_e32 v2, 0x80000000, v5
	v_cndmask_b32_e64 v60, v4, 0, s0
	scratch_load_b64 v[4:5], off, off offset:368 th:TH_LOAD_LU ; 8-byte Folded Reload
	v_cndmask_b32_e64 v61, v2, 0, s0
	v_fma_f64 v[2:3], -v[74:75], v[66:67], -v[122:123]
	scratch_load_b64 v[122:123], off, off offset:8 ; 8-byte Folded Reload
	s_wait_loadcnt 0x0
	v_fma_f64 v[2:3], -v[122:123], v[38:39], v[2:3]
	s_delay_alu instid0(VALU_DEP_1) | instskip(NEXT) | instid1(VALU_DEP_1)
	v_fma_f64 v[2:3], -v[80:81], v[116:117], v[2:3]
	v_add_f64_e64 v[2:3], v[2:3], -v[108:109]
	v_mov_b64_e32 v[108:109], v[118:119]
	s_delay_alu instid0(VALU_DEP_2) | instskip(NEXT) | instid1(VALU_DEP_1)
	v_add_f64_e64 v[2:3], v[2:3], -v[24:25]
	v_add_f64_e64 v[2:3], v[2:3], -v[28:29]
	s_delay_alu instid0(VALU_DEP_1) | instskip(NEXT) | instid1(VALU_DEP_1)
	v_add_f64_e64 v[2:3], v[2:3], -v[60:61]
	v_add_f64_e64 v[2:3], v[2:3], -v[4:5]
	scratch_load_b64 v[4:5], off, off offset:376 th:TH_LOAD_LU ; 8-byte Folded Reload
	v_add_f64_e64 v[2:3], v[2:3], -v[114:115]
	s_wait_loadcnt 0x0
	s_delay_alu instid0(VALU_DEP_1) | instskip(SKIP_1) | instid1(VALU_DEP_2)
	v_add_f64_e64 v[2:3], v[2:3], -v[4:5]
	v_mul_f64_e32 v[4:5], v[46:47], v[46:47]
	v_add_f64_e64 v[2:3], v[2:3], -v[82:83]
	s_delay_alu instid0(VALU_DEP_1) | instskip(SKIP_1) | instid1(VALU_DEP_1)
	v_fma_f64 v[72:73], -v[108:109], v[110:111], v[2:3]
	v_mul_f64_e32 v[2:3], 0x3e63cab985944719, v[30:31]
	v_div_scale_f64 v[10:11], null, v[4:5], v[4:5], v[2:3]
	s_delay_alu instid0(VALU_DEP_1) | instskip(SKIP_1) | instid1(TRANS32_DEP_1)
	v_rcp_f64_e32 v[14:15], v[10:11]
	v_nop
	v_fma_f64 v[16:17], -v[10:11], v[14:15], 1.0
	s_delay_alu instid0(VALU_DEP_1) | instskip(NEXT) | instid1(VALU_DEP_1)
	v_fmac_f64_e32 v[14:15], v[14:15], v[16:17]
	v_fma_f64 v[16:17], -v[10:11], v[14:15], 1.0
	s_delay_alu instid0(VALU_DEP_1) | instskip(SKIP_1) | instid1(VALU_DEP_1)
	v_fmac_f64_e32 v[14:15], v[14:15], v[16:17]
	v_div_scale_f64 v[16:17], vcc_lo, v[2:3], v[4:5], v[2:3]
	v_mul_f64_e32 v[24:25], v[16:17], v[14:15]
	s_delay_alu instid0(VALU_DEP_1) | instskip(NEXT) | instid1(VALU_DEP_1)
	v_fma_f64 v[10:11], -v[10:11], v[24:25], v[16:17]
	v_div_fmas_f64 v[10:11], v[10:11], v[14:15], v[24:25]
	s_delay_alu instid0(VALU_DEP_1)
	v_div_fixup_f64 v[24:25], v[10:11], v[4:5], v[2:3]
	s_clause 0x4
	scratch_load_b64 v[52:53], off, off offset:24 th:TH_LOAD_LU
	scratch_load_b64 v[2:3], off, off offset:312 th:TH_LOAD_LU
	;; [unrolled: 1-line block ×5, first 2 shown]
	s_wait_loadcnt 0x3
	v_mul_f64_e32 v[2:3], v[52:53], v[2:3]
	s_wait_loadcnt 0x2
	s_delay_alu instid0(VALU_DEP_1) | instskip(SKIP_1) | instid1(VALU_DEP_1)
	v_mul_f64_e32 v[2:3], v[114:115], v[2:3]
	s_wait_loadcnt 0x1
	v_mul_f64_e32 v[2:3], v[126:127], v[2:3]
	s_wait_loadcnt 0x0
	s_delay_alu instid0(VALU_DEP_1) | instskip(NEXT) | instid1(VALU_DEP_1)
	v_mul_f64_e32 v[2:3], v[36:37], v[2:3]
	v_div_scale_f64 v[4:5], null, v[112:113], v[112:113], v[2:3]
	s_delay_alu instid0(VALU_DEP_1) | instskip(SKIP_1) | instid1(TRANS32_DEP_1)
	v_rcp_f64_e32 v[10:11], v[4:5]
	v_nop
	v_fma_f64 v[14:15], -v[4:5], v[10:11], 1.0
	s_delay_alu instid0(VALU_DEP_1) | instskip(NEXT) | instid1(VALU_DEP_1)
	v_fmac_f64_e32 v[10:11], v[10:11], v[14:15]
	v_fma_f64 v[14:15], -v[4:5], v[10:11], 1.0
	s_delay_alu instid0(VALU_DEP_1) | instskip(SKIP_1) | instid1(VALU_DEP_1)
	v_fmac_f64_e32 v[10:11], v[10:11], v[14:15]
	v_div_scale_f64 v[14:15], vcc_lo, v[2:3], v[112:113], v[2:3]
	v_mul_f64_e32 v[16:17], v[14:15], v[10:11]
	s_delay_alu instid0(VALU_DEP_1)
	v_fma_f64 v[4:5], -v[4:5], v[16:17], v[14:15]
	scratch_load_b64 v[14:15], off, off offset:304 th:TH_LOAD_LU ; 8-byte Folded Reload
	v_div_fmas_f64 v[4:5], v[4:5], v[10:11], v[16:17]
	v_mul_f64_e32 v[10:11], v[18:19], v[18:19]
	scratch_load_b64 v[16:17], off, off offset:96 th:TH_LOAD_LU ; 8-byte Folded Reload
	v_div_fixup_f64 v[2:3], v[4:5], v[112:113], v[2:3]
	scratch_load_b64 v[112:113], off, off offset:152 th:TH_LOAD_LU ; 8-byte Folded Reload
	v_mul_f64_e32 v[10:11], v[18:19], v[10:11]
	s_wait_loadcnt 0x1
	v_mul_f64_e32 v[16:17], v[16:17], v[16:17]
	s_wait_loadcnt 0x0
	v_ldexp_f64 v[4:5], v[112:113], 3
	s_delay_alu instid0(VALU_DEP_1) | instskip(NEXT) | instid1(VALU_DEP_1)
	v_mul_f64_e32 v[4:5], v[4:5], v[10:11]
	v_mul_f64_e32 v[4:5], v[4:5], v[14:15]
	scratch_load_b64 v[14:15], off, off offset:88 th:TH_LOAD_LU ; 8-byte Folded Reload
	v_mul_f64_e32 v[4:5], v[22:23], v[4:5]
	s_delay_alu instid0(VALU_DEP_1) | instskip(NEXT) | instid1(VALU_DEP_1)
	v_mul_f64_e32 v[4:5], v[52:53], v[4:5]
	v_mul_f64_e32 v[4:5], v[42:43], v[4:5]
	s_delay_alu instid0(VALU_DEP_1) | instskip(NEXT) | instid1(VALU_DEP_1)
	v_mul_f64_e32 v[4:5], v[114:115], v[4:5]
	v_mul_f64_e32 v[4:5], v[126:127], v[4:5]
	s_delay_alu instid0(VALU_DEP_1) | instskip(SKIP_2) | instid1(VALU_DEP_1)
	v_mul_f64_e32 v[4:5], v[36:37], v[4:5]
	s_wait_loadcnt 0x0
	v_mul_f64_e32 v[14:15], v[14:15], v[14:15]
	v_mul_f64_e32 v[14:15], v[14:15], v[16:17]
	;; [unrolled: 1-line block ×3, first 2 shown]
	s_delay_alu instid0(VALU_DEP_1) | instskip(NEXT) | instid1(VALU_DEP_1)
	v_mul_f64_e32 v[16:17], v[14:15], v[16:17]
	v_div_scale_f64 v[30:31], null, v[16:17], v[16:17], v[4:5]
	s_delay_alu instid0(VALU_DEP_1) | instskip(SKIP_1) | instid1(TRANS32_DEP_1)
	v_rcp_f64_e32 v[46:47], v[30:31]
	v_nop
	v_fma_f64 v[48:49], -v[30:31], v[46:47], 1.0
	s_delay_alu instid0(VALU_DEP_1) | instskip(NEXT) | instid1(VALU_DEP_1)
	v_fmac_f64_e32 v[46:47], v[46:47], v[48:49]
	v_fma_f64 v[48:49], -v[30:31], v[46:47], 1.0
	s_delay_alu instid0(VALU_DEP_1) | instskip(SKIP_1) | instid1(VALU_DEP_1)
	v_fmac_f64_e32 v[46:47], v[46:47], v[48:49]
	v_div_scale_f64 v[48:49], vcc_lo, v[4:5], v[16:17], v[4:5]
	v_mul_f64_e32 v[50:51], v[48:49], v[46:47]
	s_delay_alu instid0(VALU_DEP_1) | instskip(NEXT) | instid1(VALU_DEP_1)
	v_fma_f64 v[30:31], -v[30:31], v[50:51], v[48:49]
	v_div_fmas_f64 v[30:31], v[30:31], v[46:47], v[50:51]
	s_delay_alu instid0(VALU_DEP_1) | instskip(NEXT) | instid1(VALU_DEP_1)
	v_div_fixup_f64 v[4:5], v[30:31], v[16:17], v[4:5]
	v_add_f64_e64 v[2:3], v[2:3], -v[4:5]
	v_add_f64_e32 v[4:5], v[112:113], v[112:113]
	s_delay_alu instid0(VALU_DEP_1) | instskip(SKIP_1) | instid1(VALU_DEP_2)
	v_mul_f64_e32 v[4:5], v[4:5], v[10:11]
	v_mul_f64_e32 v[10:11], v[14:15], v[62:63]
	;; [unrolled: 1-line block ×3, first 2 shown]
	s_delay_alu instid0(VALU_DEP_1) | instskip(NEXT) | instid1(VALU_DEP_1)
	v_mul_f64_e32 v[4:5], v[22:23], v[4:5]
	v_mul_f64_e32 v[4:5], v[52:53], v[4:5]
	s_delay_alu instid0(VALU_DEP_1) | instskip(NEXT) | instid1(VALU_DEP_1)
	v_mul_f64_e32 v[4:5], v[4:5], v[42:43]
	v_mul_f64_e32 v[4:5], v[114:115], v[4:5]
	;; [unrolled: 3-line block ×3, first 2 shown]
	s_delay_alu instid0(VALU_DEP_1) | instskip(NEXT) | instid1(VALU_DEP_1)
	v_div_scale_f64 v[14:15], null, v[10:11], v[10:11], v[4:5]
	v_rcp_f64_e32 v[16:17], v[14:15]
	v_nop
	s_delay_alu instid0(TRANS32_DEP_1) | instskip(NEXT) | instid1(VALU_DEP_1)
	v_fma_f64 v[22:23], -v[14:15], v[16:17], 1.0
	v_fmac_f64_e32 v[16:17], v[16:17], v[22:23]
	s_delay_alu instid0(VALU_DEP_1) | instskip(NEXT) | instid1(VALU_DEP_1)
	v_fma_f64 v[22:23], -v[14:15], v[16:17], 1.0
	v_fmac_f64_e32 v[16:17], v[16:17], v[22:23]
	v_div_scale_f64 v[22:23], vcc_lo, v[4:5], v[10:11], v[4:5]
	s_delay_alu instid0(VALU_DEP_1) | instskip(NEXT) | instid1(VALU_DEP_1)
	v_mul_f64_e32 v[30:31], v[22:23], v[16:17]
	v_fma_f64 v[14:15], -v[14:15], v[30:31], v[22:23]
	s_delay_alu instid0(VALU_DEP_1) | instskip(NEXT) | instid1(VALU_DEP_1)
	v_div_fmas_f64 v[14:15], v[14:15], v[16:17], v[30:31]
	v_div_fixup_f64 v[4:5], v[14:15], v[10:11], v[4:5]
	v_mul_f64_e32 v[10:11], v[44:45], v[44:45]
	s_delay_alu instid0(VALU_DEP_2) | instskip(SKIP_1) | instid1(VALU_DEP_1)
	v_add_f64_e32 v[46:47], v[4:5], v[2:3]
	v_div_scale_f64 v[2:3], null, v[44:45], v[44:45], v[78:79]
	v_rcp_f64_e32 v[22:23], v[2:3]
	v_nop
	s_delay_alu instid0(TRANS32_DEP_1) | instskip(NEXT) | instid1(VALU_DEP_1)
	v_fma_f64 v[4:5], -v[2:3], v[22:23], 1.0
	v_fmac_f64_e32 v[22:23], v[22:23], v[4:5]
	s_delay_alu instid0(VALU_DEP_1) | instskip(NEXT) | instid1(VALU_DEP_1)
	v_fma_f64 v[4:5], -v[2:3], v[22:23], 1.0
	v_fmac_f64_e32 v[22:23], v[22:23], v[4:5]
	v_div_scale_f64 v[4:5], s0, v[78:79], v[44:45], v[78:79]
	s_mov_b32 vcc_lo, s0
	v_mul_f64_e32 v[30:31], v[4:5], v[22:23]
	s_delay_alu instid0(VALU_DEP_1) | instskip(SKIP_1) | instid1(VALU_DEP_2)
	v_fma_f64 v[42:43], -v[2:3], v[30:31], v[4:5]
	v_mul_f64_e32 v[4:5], 0x4025dfe954aa4deb, v[78:79]
	v_div_fmas_f64 v[2:3], v[42:43], v[22:23], v[30:31]
	s_delay_alu instid0(VALU_DEP_2) | instskip(NEXT) | instid1(VALU_DEP_2)
	v_mul_f64_e32 v[4:5], v[4:5], v[68:69]
	v_div_fixup_f64 v[2:3], v[2:3], v[44:45], v[78:79]
	s_delay_alu instid0(VALU_DEP_2) | instskip(NEXT) | instid1(VALU_DEP_1)
	v_mul_f64_e32 v[4:5], v[20:21], v[4:5]
	v_div_scale_f64 v[14:15], null, v[10:11], v[10:11], v[4:5]
	s_delay_alu instid0(VALU_DEP_1) | instskip(SKIP_1) | instid1(TRANS32_DEP_1)
	v_rcp_f64_e32 v[16:17], v[14:15]
	v_nop
	v_fma_f64 v[20:21], -v[14:15], v[16:17], 1.0
	s_delay_alu instid0(VALU_DEP_1) | instskip(NEXT) | instid1(VALU_DEP_1)
	v_fmac_f64_e32 v[16:17], v[16:17], v[20:21]
	v_fma_f64 v[20:21], -v[14:15], v[16:17], 1.0
	s_delay_alu instid0(VALU_DEP_1) | instskip(SKIP_1) | instid1(VALU_DEP_1)
	v_fmac_f64_e32 v[16:17], v[16:17], v[20:21]
	v_div_scale_f64 v[20:21], vcc_lo, v[4:5], v[10:11], v[4:5]
	v_mul_f64_e32 v[48:49], v[20:21], v[16:17]
	s_delay_alu instid0(VALU_DEP_1) | instskip(NEXT) | instid1(VALU_DEP_1)
	v_fma_f64 v[14:15], -v[14:15], v[48:49], v[20:21]
	v_div_fmas_f64 v[14:15], v[14:15], v[16:17], v[48:49]
	s_delay_alu instid0(VALU_DEP_1) | instskip(SKIP_1) | instid1(VALU_DEP_2)
	v_div_fixup_f64 v[4:5], v[14:15], v[10:11], v[4:5]
	v_mul_f64_e32 v[10:11], v[6:7], v[6:7]
	v_add_f64_e32 v[48:49], v[2:3], v[4:5]
	s_delay_alu instid0(VALU_DEP_2) | instskip(SKIP_1) | instid1(VALU_DEP_2)
	v_div_scale_f64 v[4:5], null, v[10:11], v[10:11], -v[106:107]
	v_mul_f64_e32 v[2:3], v[92:93], v[70:71]
	v_rcp_f64_e32 v[14:15], v[4:5]
	v_nop
	s_delay_alu instid0(TRANS32_DEP_1) | instskip(NEXT) | instid1(VALU_DEP_1)
	v_fma_f64 v[16:17], -v[4:5], v[14:15], 1.0
	v_fmac_f64_e32 v[14:15], v[14:15], v[16:17]
	s_delay_alu instid0(VALU_DEP_1) | instskip(NEXT) | instid1(VALU_DEP_1)
	v_fma_f64 v[16:17], -v[4:5], v[14:15], 1.0
	v_fmac_f64_e32 v[14:15], v[14:15], v[16:17]
	v_div_scale_f64 v[16:17], vcc_lo, -v[106:107], v[10:11], -v[106:107]
	s_delay_alu instid0(VALU_DEP_1) | instskip(NEXT) | instid1(VALU_DEP_1)
	v_mul_f64_e32 v[20:21], v[16:17], v[14:15]
	v_fma_f64 v[4:5], -v[4:5], v[20:21], v[16:17]
	s_delay_alu instid0(VALU_DEP_1) | instskip(SKIP_1) | instid1(VALU_DEP_2)
	v_div_fmas_f64 v[4:5], v[4:5], v[14:15], v[20:21]
	v_div_scale_f64 v[14:15], null, v[6:7], v[6:7], 1.0
	v_div_fixup_f64 v[4:5], v[4:5], v[10:11], -v[106:107]
	s_delay_alu instid0(VALU_DEP_2) | instskip(SKIP_1) | instid1(TRANS32_DEP_1)
	v_rcp_f64_e32 v[16:17], v[14:15]
	v_nop
	v_fma_f64 v[20:21], -v[14:15], v[16:17], 1.0
	s_delay_alu instid0(VALU_DEP_1) | instskip(NEXT) | instid1(VALU_DEP_1)
	v_fmac_f64_e32 v[16:17], v[16:17], v[20:21]
	v_fma_f64 v[20:21], -v[14:15], v[16:17], 1.0
	s_delay_alu instid0(VALU_DEP_1) | instskip(SKIP_1) | instid1(VALU_DEP_1)
	v_fmac_f64_e32 v[16:17], v[16:17], v[20:21]
	v_div_scale_f64 v[20:21], vcc_lo, 1.0, v[6:7], 1.0
	v_mul_f64_e32 v[50:51], v[20:21], v[16:17]
	s_delay_alu instid0(VALU_DEP_1) | instskip(NEXT) | instid1(VALU_DEP_1)
	v_fma_f64 v[14:15], -v[14:15], v[50:51], v[20:21]
	v_div_fmas_f64 v[14:15], v[14:15], v[16:17], v[50:51]
	s_delay_alu instid0(VALU_DEP_1) | instskip(SKIP_1) | instid1(VALU_DEP_1)
	v_div_fixup_f64 v[6:7], v[14:15], v[6:7], 1.0
	v_div_scale_f64 v[14:15], null, v[10:11], v[10:11], v[106:107]
	v_rcp_f64_e32 v[16:17], v[14:15]
	v_nop
	s_delay_alu instid0(TRANS32_DEP_1) | instskip(NEXT) | instid1(VALU_DEP_1)
	v_fma_f64 v[20:21], -v[14:15], v[16:17], 1.0
	v_fmac_f64_e32 v[16:17], v[16:17], v[20:21]
	s_delay_alu instid0(VALU_DEP_1) | instskip(NEXT) | instid1(VALU_DEP_1)
	v_fma_f64 v[20:21], -v[14:15], v[16:17], 1.0
	v_fmac_f64_e32 v[16:17], v[16:17], v[20:21]
	v_div_scale_f64 v[20:21], vcc_lo, v[106:107], v[10:11], v[106:107]
	s_delay_alu instid0(VALU_DEP_1) | instskip(NEXT) | instid1(VALU_DEP_1)
	v_mul_f64_e32 v[50:51], v[20:21], v[16:17]
	v_fma_f64 v[14:15], -v[14:15], v[50:51], v[20:21]
	v_mul_f64_e32 v[20:21], 0x3fa2d5de91bd8c28, v[120:121]
	s_delay_alu instid0(VALU_DEP_2) | instskip(NEXT) | instid1(VALU_DEP_1)
	v_div_fmas_f64 v[14:15], v[14:15], v[16:17], v[50:51]
	v_div_fixup_f64 v[10:11], v[14:15], v[10:11], v[106:107]
	s_delay_alu instid0(VALU_DEP_1) | instskip(NEXT) | instid1(VALU_DEP_4)
	v_add_f64_e64 v[6:7], v[6:7], -v[10:11]
	v_fmamk_f64 v[10:11], v[124:125], 0x3f440ed76acf4366, v[20:21]
	s_delay_alu instid0(VALU_DEP_1) | instskip(NEXT) | instid1(VALU_DEP_1)
	v_div_scale_f64 v[14:15], null, v[32:33], v[32:33], v[10:11]
	v_rcp_f64_e32 v[16:17], v[14:15]
	v_nop
	s_delay_alu instid0(TRANS32_DEP_1) | instskip(NEXT) | instid1(VALU_DEP_1)
	v_fma_f64 v[50:51], -v[14:15], v[16:17], 1.0
	v_fmac_f64_e32 v[16:17], v[16:17], v[50:51]
	s_delay_alu instid0(VALU_DEP_1) | instskip(NEXT) | instid1(VALU_DEP_1)
	v_fma_f64 v[50:51], -v[14:15], v[16:17], 1.0
	v_fmac_f64_e32 v[16:17], v[16:17], v[50:51]
	v_div_scale_f64 v[50:51], vcc_lo, v[10:11], v[32:33], v[10:11]
	s_delay_alu instid0(VALU_DEP_1) | instskip(NEXT) | instid1(VALU_DEP_1)
	v_mul_f64_e32 v[52:53], v[50:51], v[16:17]
	v_fma_f64 v[14:15], -v[14:15], v[52:53], v[50:51]
	s_delay_alu instid0(VALU_DEP_1) | instskip(NEXT) | instid1(VALU_DEP_1)
	v_div_fmas_f64 v[14:15], v[14:15], v[16:17], v[52:53]
	v_div_fixup_f64 v[10:11], v[14:15], v[32:33], v[10:11]
	v_mul_f64_e32 v[14:15], 0.5, v[76:77]
	s_delay_alu instid0(VALU_DEP_1) | instskip(SKIP_1) | instid1(VALU_DEP_1)
	v_mul_f64_e32 v[8:9], v[8:9], v[14:15]
	v_mul_f64_e32 v[14:15], v[32:33], v[32:33]
	v_div_scale_f64 v[16:17], null, v[14:15], v[14:15], v[8:9]
	s_delay_alu instid0(VALU_DEP_1) | instskip(SKIP_1) | instid1(TRANS32_DEP_1)
	v_rcp_f64_e32 v[50:51], v[16:17]
	v_nop
	v_fma_f64 v[52:53], -v[16:17], v[50:51], 1.0
	s_delay_alu instid0(VALU_DEP_1) | instskip(NEXT) | instid1(VALU_DEP_1)
	v_fmac_f64_e32 v[50:51], v[50:51], v[52:53]
	v_fma_f64 v[52:53], -v[16:17], v[50:51], 1.0
	s_delay_alu instid0(VALU_DEP_1) | instskip(SKIP_1) | instid1(VALU_DEP_1)
	v_fmac_f64_e32 v[50:51], v[50:51], v[52:53]
	v_div_scale_f64 v[52:53], vcc_lo, v[8:9], v[14:15], v[8:9]
	v_mul_f64_e32 v[56:57], v[52:53], v[50:51]
	s_delay_alu instid0(VALU_DEP_1) | instskip(SKIP_2) | instid1(VALU_DEP_3)
	v_fma_f64 v[16:17], -v[16:17], v[56:57], v[52:53]
	v_cndmask_b32_e64 v53, 0x3ff00000, 0, s1
	v_mov_b32_e32 v52, 0
	v_div_fmas_f64 v[16:17], v[16:17], v[50:51], v[56:57]
	v_mul_f64_e32 v[50:51], v[34:35], v[88:89]
	scratch_load_b64 v[34:35], off, off offset:288 th:TH_LOAD_LU ; 8-byte Folded Reload
	v_div_fixup_f64 v[14:15], v[16:17], v[14:15], v[8:9]
	v_mul_f64_e32 v[8:9], v[12:13], v[66:67]
	v_mul_f64_e32 v[12:13], v[24:25], v[6:7]
	s_delay_alu instid0(VALU_DEP_3) | instskip(NEXT) | instid1(VALU_DEP_1)
	v_add_f64_e32 v[10:11], v[10:11], v[14:15]
	v_fma_f64 v[56:57], v[10:11], v[4:5], -v[12:13]
	v_mul_f64_e32 v[10:11], 0x3fa212d77318fc50, v[18:19]
	s_delay_alu instid0(VALU_DEP_2) | instskip(NEXT) | instid1(VALU_DEP_2)
	v_fma_f64 v[62:63], v[74:75], v[56:57], v[8:9]
	v_mul_f64_e32 v[10:11], v[10:11], v[100:101]
	s_delay_alu instid0(VALU_DEP_1) | instskip(NEXT) | instid1(VALU_DEP_1)
	v_div_scale_f64 v[16:17], null, v[98:99], v[98:99], v[10:11]
	v_rcp_f64_e32 v[68:69], v[16:17]
	v_nop
	s_delay_alu instid0(TRANS32_DEP_1) | instskip(NEXT) | instid1(VALU_DEP_1)
	v_fma_f64 v[70:71], -v[16:17], v[68:69], 1.0
	v_fmac_f64_e32 v[68:69], v[68:69], v[70:71]
	s_delay_alu instid0(VALU_DEP_1) | instskip(NEXT) | instid1(VALU_DEP_1)
	v_fma_f64 v[70:71], -v[16:17], v[68:69], 1.0
	v_fmac_f64_e32 v[68:69], v[68:69], v[70:71]
	v_div_scale_f64 v[70:71], vcc_lo, v[10:11], v[98:99], v[10:11]
	s_delay_alu instid0(VALU_DEP_1) | instskip(NEXT) | instid1(VALU_DEP_1)
	v_mul_f64_e32 v[76:77], v[70:71], v[68:69]
	v_fma_f64 v[16:17], -v[16:17], v[76:77], v[70:71]
	s_delay_alu instid0(VALU_DEP_1) | instskip(NEXT) | instid1(VALU_DEP_1)
	v_div_fmas_f64 v[16:17], v[16:17], v[68:69], v[76:77]
	v_div_fixup_f64 v[10:11], v[16:17], v[98:99], v[10:11]
	v_mul_f64_e32 v[16:17], 0x3f897f62b6ae7d56, v[18:19]
	s_delay_alu instid0(VALU_DEP_1) | instskip(NEXT) | instid1(VALU_DEP_1)
	v_mul_f64_e32 v[16:17], v[16:17], v[104:105]
	v_div_scale_f64 v[68:69], null, v[98:99], v[98:99], v[16:17]
	s_delay_alu instid0(VALU_DEP_1) | instskip(SKIP_1) | instid1(TRANS32_DEP_1)
	v_rcp_f64_e32 v[70:71], v[68:69]
	v_nop
	v_fma_f64 v[76:77], -v[68:69], v[70:71], 1.0
	s_delay_alu instid0(VALU_DEP_1) | instskip(NEXT) | instid1(VALU_DEP_1)
	v_fmac_f64_e32 v[70:71], v[70:71], v[76:77]
	v_fma_f64 v[76:77], -v[68:69], v[70:71], 1.0
	s_delay_alu instid0(VALU_DEP_1) | instskip(SKIP_1) | instid1(VALU_DEP_1)
	v_fmac_f64_e32 v[70:71], v[70:71], v[76:77]
	v_div_scale_f64 v[76:77], vcc_lo, v[16:17], v[98:99], v[16:17]
	v_mul_f64_e32 v[88:89], v[76:77], v[70:71]
	s_delay_alu instid0(VALU_DEP_1) | instskip(NEXT) | instid1(VALU_DEP_1)
	v_fma_f64 v[68:69], -v[68:69], v[88:89], v[76:77]
	v_div_fmas_f64 v[68:69], v[68:69], v[70:71], v[88:89]
	s_delay_alu instid0(VALU_DEP_1) | instskip(NEXT) | instid1(VALU_DEP_1)
	v_div_fixup_f64 v[16:17], v[68:69], v[98:99], v[16:17]
	v_add_f64_e32 v[10:11], v[10:11], v[16:17]
	v_mul_f64_e32 v[16:17], v[102:103], v[102:103]
	s_delay_alu instid0(VALU_DEP_2) | instskip(SKIP_1) | instid1(VALU_DEP_2)
	v_mul_f64_e32 v[10:11], v[94:95], v[10:11]
	s_wait_loadcnt 0x0
	v_mul_f64_e32 v[16:17], v[34:35], v[16:17]
	s_delay_alu instid0(VALU_DEP_2) | instskip(NEXT) | instid1(VALU_DEP_1)
	v_mul_f64_e32 v[10:11], v[40:41], v[10:11]
	v_div_scale_f64 v[40:41], null, v[16:17], v[16:17], v[10:11]
	s_delay_alu instid0(VALU_DEP_1) | instskip(SKIP_1) | instid1(TRANS32_DEP_1)
	v_rcp_f64_e32 v[68:69], v[40:41]
	v_nop
	v_fma_f64 v[70:71], -v[40:41], v[68:69], 1.0
	s_delay_alu instid0(VALU_DEP_1) | instskip(NEXT) | instid1(VALU_DEP_1)
	v_fmac_f64_e32 v[68:69], v[68:69], v[70:71]
	v_fma_f64 v[70:71], -v[40:41], v[68:69], 1.0
	s_delay_alu instid0(VALU_DEP_1) | instskip(SKIP_1) | instid1(VALU_DEP_1)
	v_fmac_f64_e32 v[68:69], v[68:69], v[70:71]
	v_div_scale_f64 v[70:71], vcc_lo, v[10:11], v[16:17], v[10:11]
	v_mul_f64_e32 v[76:77], v[70:71], v[68:69]
	s_delay_alu instid0(VALU_DEP_1) | instskip(NEXT) | instid1(VALU_DEP_1)
	v_fma_f64 v[40:41], -v[40:41], v[76:77], v[70:71]
	v_div_fmas_f64 v[40:41], v[40:41], v[68:69], v[76:77]
	scratch_load_b64 v[76:77], off, off offset:400 th:TH_LOAD_LU ; 8-byte Folded Reload
	v_div_fixup_f64 v[40:41], v[40:41], v[16:17], v[10:11]
	s_clause 0x1
	scratch_load_b64 v[10:11], off, off offset:16 th:TH_LOAD_LU
	scratch_load_b64 v[16:17], off, off offset:112 th:TH_LOAD_LU
	s_wait_loadcnt 0x1
	v_mul_f64_e32 v[10:11], v[10:11], v[18:19]
	s_wait_loadcnt 0x0
	s_delay_alu instid0(VALU_DEP_1)
	v_mul_f64_e32 v[10:11], v[16:17], v[10:11]
	scratch_load_b64 v[16:17], off, off offset:392 th:TH_LOAD_LU ; 8-byte Folded Reload
	s_wait_loadcnt 0x0
	v_mul_f64_e32 v[10:11], v[16:17], v[10:11]
	scratch_load_b64 v[16:17], off, off offset:280 th:TH_LOAD_LU ; 8-byte Folded Reload
	s_wait_loadcnt 0x0
	v_mul_f64_e32 v[10:11], v[10:11], v[16:17]
	s_delay_alu instid0(VALU_DEP_1) | instskip(NEXT) | instid1(VALU_DEP_1)
	v_div_scale_f64 v[16:17], null, v[98:99], v[98:99], v[10:11]
	v_rcp_f64_e32 v[34:35], v[16:17]
	v_nop
	s_delay_alu instid0(TRANS32_DEP_1) | instskip(NEXT) | instid1(VALU_DEP_1)
	v_fma_f64 v[68:69], -v[16:17], v[34:35], 1.0
	v_fmac_f64_e32 v[34:35], v[34:35], v[68:69]
	s_delay_alu instid0(VALU_DEP_1) | instskip(NEXT) | instid1(VALU_DEP_1)
	v_fma_f64 v[68:69], -v[16:17], v[34:35], 1.0
	v_fmac_f64_e32 v[34:35], v[34:35], v[68:69]
	v_div_scale_f64 v[68:69], vcc_lo, v[10:11], v[98:99], v[10:11]
	s_delay_alu instid0(VALU_DEP_1) | instskip(NEXT) | instid1(VALU_DEP_1)
	v_mul_f64_e32 v[70:71], v[68:69], v[34:35]
	v_fma_f64 v[16:17], -v[16:17], v[70:71], v[68:69]
	s_delay_alu instid0(VALU_DEP_1)
	v_div_fmas_f64 v[16:17], v[16:17], v[34:35], v[70:71]
	scratch_load_b64 v[34:35], off, off offset:360 th:TH_LOAD_LU ; 8-byte Folded Reload
	v_div_fixup_f64 v[10:11], v[16:17], v[98:99], v[10:11]
	scratch_load_b64 v[16:17], off, off offset:136 th:TH_LOAD_LU ; 8-byte Folded Reload
	s_wait_loadcnt 0x0
	v_mul_f64_e32 v[16:17], v[16:17], v[18:19]
	s_delay_alu instid0(VALU_DEP_1) | instskip(SKIP_3) | instid1(VALU_DEP_1)
	v_mul_f64_e32 v[16:17], v[34:35], v[16:17]
	scratch_load_b64 v[34:35], off, off offset:208 th:TH_LOAD_LU ; 8-byte Folded Reload
	v_mul_f64_e32 v[16:17], v[76:77], v[16:17]
	s_wait_loadcnt 0x0
	v_mul_f64_e32 v[16:17], v[34:35], v[16:17]
	s_delay_alu instid0(VALU_DEP_1) | instskip(NEXT) | instid1(VALU_DEP_1)
	v_mul_f64_e32 v[16:17], v[16:17], v[26:27]
	v_div_scale_f64 v[34:35], null, v[98:99], v[98:99], v[16:17]
	s_delay_alu instid0(VALU_DEP_1) | instskip(SKIP_1) | instid1(TRANS32_DEP_1)
	v_rcp_f64_e32 v[36:37], v[34:35]
	v_nop
	v_fma_f64 v[68:69], -v[34:35], v[36:37], 1.0
	s_delay_alu instid0(VALU_DEP_1) | instskip(NEXT) | instid1(VALU_DEP_1)
	v_fmac_f64_e32 v[36:37], v[36:37], v[68:69]
	v_fma_f64 v[68:69], -v[34:35], v[36:37], 1.0
	s_delay_alu instid0(VALU_DEP_1) | instskip(SKIP_1) | instid1(VALU_DEP_1)
	v_fmac_f64_e32 v[36:37], v[36:37], v[68:69]
	v_div_scale_f64 v[68:69], vcc_lo, v[16:17], v[98:99], v[16:17]
	v_mul_f64_e32 v[70:71], v[68:69], v[36:37]
	s_delay_alu instid0(VALU_DEP_1) | instskip(NEXT) | instid1(VALU_DEP_1)
	v_fma_f64 v[34:35], -v[34:35], v[70:71], v[68:69]
	v_div_fmas_f64 v[34:35], v[34:35], v[36:37], v[70:71]
	scratch_load_b64 v[70:71], off, off offset:64 th:TH_LOAD_LU ; 8-byte Folded Reload
	v_div_fixup_f64 v[16:17], v[34:35], v[98:99], v[16:17]
	s_delay_alu instid0(VALU_DEP_1) | instskip(SKIP_1) | instid1(VALU_DEP_1)
	v_add_f64_e64 v[10:11], v[10:11], -v[16:17]
	s_wait_loadcnt 0x0
	v_mul_f64_e32 v[10:11], v[70:71], v[10:11]
	s_delay_alu instid0(VALU_DEP_1) | instskip(NEXT) | instid1(VALU_DEP_1)
	v_div_scale_f64 v[16:17], null, v[64:65], v[64:65], v[10:11]
	v_rcp_f64_e32 v[34:35], v[16:17]
	v_nop
	s_delay_alu instid0(TRANS32_DEP_1) | instskip(NEXT) | instid1(VALU_DEP_1)
	v_fma_f64 v[36:37], -v[16:17], v[34:35], 1.0
	v_fmac_f64_e32 v[34:35], v[34:35], v[36:37]
	s_delay_alu instid0(VALU_DEP_1) | instskip(NEXT) | instid1(VALU_DEP_1)
	v_fma_f64 v[36:37], -v[16:17], v[34:35], 1.0
	v_fmac_f64_e32 v[34:35], v[34:35], v[36:37]
	v_div_scale_f64 v[36:37], vcc_lo, v[10:11], v[64:65], v[10:11]
	s_delay_alu instid0(VALU_DEP_1) | instskip(NEXT) | instid1(VALU_DEP_1)
	v_mul_f64_e32 v[68:69], v[36:37], v[34:35]
	v_fma_f64 v[16:17], -v[16:17], v[68:69], v[36:37]
	s_delay_alu instid0(VALU_DEP_1) | instskip(SKIP_4) | instid1(VALU_DEP_1)
	v_div_fmas_f64 v[16:17], v[16:17], v[34:35], v[68:69]
	scratch_load_b64 v[34:35], off, off offset:128 th:TH_LOAD_LU ; 8-byte Folded Reload
	v_div_fixup_f64 v[10:11], v[16:17], v[64:65], v[10:11]
	v_mul_f64_e32 v[16:17], v[70:71], v[18:19]
	s_wait_loadcnt 0x0
	v_mul_f64_e32 v[16:17], v[34:35], v[16:17]
	scratch_load_b64 v[34:35], off, off offset:408 th:TH_LOAD_LU ; 8-byte Folded Reload
	v_mul_f64_e32 v[16:17], v[76:77], v[16:17]
	s_wait_loadcnt 0x0
	s_delay_alu instid0(VALU_DEP_1)
	v_mul_f64_e32 v[16:17], v[16:17], v[34:35]
	scratch_load_b64 v[34:35], off, off offset:416 th:TH_LOAD_LU ; 8-byte Folded Reload
	v_mul_f64_e32 v[16:17], v[26:27], v[16:17]
	scratch_load_b64 v[26:27], off, off offset:384 th:TH_LOAD_LU ; 8-byte Folded Reload
	s_wait_loadcnt 0x0
	v_mul_f64_e32 v[26:27], v[26:27], v[26:27]
	s_delay_alu instid0(VALU_DEP_1) | instskip(NEXT) | instid1(VALU_DEP_1)
	v_mul_f64_e32 v[26:27], v[98:99], v[26:27]
	v_mul_f64_e32 v[26:27], v[34:35], v[26:27]
	scratch_load_b64 v[34:35], off, off offset:424 th:TH_LOAD_LU ; 8-byte Folded Reload
	s_wait_loadcnt 0x0
	v_mul_f64_e32 v[26:27], v[34:35], v[26:27]
	s_delay_alu instid0(VALU_DEP_1) | instskip(NEXT) | instid1(VALU_DEP_1)
	v_div_scale_f64 v[34:35], null, v[26:27], v[26:27], v[16:17]
	v_rcp_f64_e32 v[36:37], v[34:35]
	v_nop
	s_delay_alu instid0(TRANS32_DEP_1) | instskip(NEXT) | instid1(VALU_DEP_1)
	v_fma_f64 v[64:65], -v[34:35], v[36:37], 1.0
	v_fmac_f64_e32 v[36:37], v[36:37], v[64:65]
	s_delay_alu instid0(VALU_DEP_1) | instskip(NEXT) | instid1(VALU_DEP_1)
	v_fma_f64 v[64:65], -v[34:35], v[36:37], 1.0
	v_fmac_f64_e32 v[36:37], v[36:37], v[64:65]
	v_div_scale_f64 v[64:65], vcc_lo, v[16:17], v[26:27], v[16:17]
	s_delay_alu instid0(VALU_DEP_1) | instskip(NEXT) | instid1(VALU_DEP_1)
	v_mul_f64_e32 v[68:69], v[64:65], v[36:37]
	v_fma_f64 v[34:35], -v[34:35], v[68:69], v[64:65]
	s_delay_alu instid0(VALU_DEP_1) | instskip(NEXT) | instid1(VALU_DEP_1)
	v_div_fmas_f64 v[34:35], v[34:35], v[36:37], v[68:69]
	v_div_fixup_f64 v[16:17], v[34:35], v[26:27], v[16:17]
	s_delay_alu instid0(VALU_DEP_1)
	v_add_f64_e64 v[10:11], v[10:11], -v[16:17]
	s_clause 0x1
	scratch_load_b64 v[16:17], off, off offset:120 th:TH_LOAD_LU
	scratch_load_b64 v[26:27], off, off offset:200 th:TH_LOAD_LU
	s_wait_loadcnt 0x0
	v_add_f64_e64 v[16:17], -v[16:17], -v[26:27]
                                        ; implicit-def: $vgpr26_vgpr27
	s_delay_alu instid0(VALU_DEP_1) | instskip(NEXT) | instid1(VALU_DEP_1)
	v_add_f64_e64 v[16:17], v[16:17], -v[62:63]
	v_fma_f64 v[16:17], -v[122:123], v[50:51], v[16:17]
	s_delay_alu instid0(VALU_DEP_1) | instskip(NEXT) | instid1(VALU_DEP_1)
	v_fma_f64 v[16:17], -v[58:59], v[96:97], v[16:17]
	v_add_f64_e64 v[10:11], v[16:17], -v[10:11]
	scratch_load_b64 v[16:17], off, off offset:176 th:TH_LOAD_LU ; 8-byte Folded Reload
	v_add_f64_e64 v[10:11], v[10:11], -v[40:41]
	s_wait_loadcnt 0x0
	s_delay_alu instid0(VALU_DEP_1) | instskip(NEXT) | instid1(VALU_DEP_1)
	v_fma_f64 v[10:11], -v[16:17], v[84:85], v[10:11]
	v_add_f64_e64 v[10:11], v[10:11], -v[48:49]
	s_delay_alu instid0(VALU_DEP_1) | instskip(NEXT) | instid1(VALU_DEP_1)
	v_fma_f64 v[10:11], -v[108:109], v[2:3], v[10:11]
	v_fma_f64 v[10:11], -v[74:75], v[56:57], v[10:11]
	s_delay_alu instid0(VALU_DEP_1) | instskip(NEXT) | instid1(VALU_DEP_1)
	v_fma_f64 v[36:37], -v[52:53], v[46:47], v[10:11]
	v_cmp_ngt_f64_e64 s1, |v[36:37]|, s[2:3]
	s_wait_xcnt 0x0
	s_and_saveexec_b32 s2, s1
	s_delay_alu instid0(SALU_CYCLE_1)
	s_xor_b32 s1, exec_lo, s2
; %bb.78:
	v_mul_f64_e32 v[26:27], s[12:13], v[72:73]
                                        ; implicit-def: $vgpr36_vgpr37
                                        ; implicit-def: $vgpr72_vgpr73
; %bb.79:
	s_or_saveexec_b32 s2, s1
	s_clause 0x1
	scratch_load_b64 v[10:11], off, off offset:8 th:TH_LOAD_LU
	scratch_load_b64 v[76:77], off, off offset:160 th:TH_LOAD_LU
	v_mul_f64_e32 v[40:41], v[108:109], v[110:111]
	v_mul_f64_e32 v[46:47], v[80:81], v[116:117]
	;; [unrolled: 1-line block ×3, first 2 shown]
	s_wait_loadcnt 0x1
	v_mul_f64_e32 v[38:39], v[10:11], v[38:39]
	v_mul_f64_e32 v[34:35], v[10:11], v[50:51]
	scratch_load_b64 v[10:11], off, off offset:48 th:TH_LOAD_LU ; 8-byte Folded Reload
	s_wait_loadcnt 0x1
	v_ashrrev_i32_e32 v77, 31, v76
	s_wait_loadcnt 0x0
	v_lshl_add_u64 v[16:17], v[10:11], 3, s[8:9]
	s_wait_xcnt 0x0
	s_xor_b32 exec_lo, exec_lo, s2
	s_cbranch_execz .LBB0_81
; %bb.80:
	v_mul_f64_e32 v[10:11], s[12:13], v[36:37]
	s_mov_b64 s[4:5], 0x3e5ade156a5dcb37
	s_delay_alu instid0(VALU_DEP_1) | instskip(SKIP_2) | instid1(VALU_DEP_3)
	v_mul_f64_e32 v[26:27], 0x3ff71547652b82fe, v[10:11]
	v_cmp_nlt_f64_e32 vcc_lo, 0x40900000, v[10:11]
	v_cmp_ngt_f64_e64 s1, 0xc090cc00, v[10:11]
	v_rndne_f64_e32 v[26:27], v[26:27]
	s_delay_alu instid0(VALU_DEP_1) | instskip(SKIP_1) | instid1(VALU_DEP_2)
	v_fmamk_f64 v[50:51], v[26:27], 0xbfe62e42fefa39ef, v[10:11]
	v_cvt_i32_f64_e32 v56, v[26:27]
	v_fmamk_f64 v[50:51], v[26:27], 0xbc7abc9e3b39803f, v[50:51]
	s_delay_alu instid0(VALU_DEP_1) | instskip(NEXT) | instid1(VALU_DEP_1)
	v_fmaak_f64 v[52:53], s[4:5], v[50:51], 0x3e928af3fca7ab0c
	v_fmaak_f64 v[52:53], v[50:51], v[52:53], 0x3ec71dee623fde64
	s_delay_alu instid0(VALU_DEP_1) | instskip(NEXT) | instid1(VALU_DEP_1)
	v_fmaak_f64 v[52:53], v[50:51], v[52:53], 0x3efa01997c89e6b0
	v_fmaak_f64 v[52:53], v[50:51], v[52:53], 0x3f2a01a014761f6e
	;; [unrolled: 3-line block ×4, first 2 shown]
	s_delay_alu instid0(VALU_DEP_1) | instskip(NEXT) | instid1(VALU_DEP_1)
	v_fmaak_f64 v[52:53], v[50:51], v[52:53], 0x3fe000000000000b
	v_fma_f64 v[52:53], v[50:51], v[52:53], 1.0
	s_delay_alu instid0(VALU_DEP_1) | instskip(NEXT) | instid1(VALU_DEP_1)
	v_fma_f64 v[26:27], v[50:51], v[52:53], 1.0
	v_ldexp_f64 v[26:27], v[26:27], v56
	s_delay_alu instid0(VALU_DEP_1) | instskip(NEXT) | instid1(VALU_DEP_1)
	v_add_f64_e32 v[26:27], -1.0, v[26:27]
	v_cndmask_b32_e32 v27, 0x7ff00000, v27, vcc_lo
	s_and_b32 vcc_lo, s1, vcc_lo
	s_delay_alu instid0(VALU_DEP_2) | instskip(NEXT) | instid1(VALU_DEP_2)
	v_cndmask_b32_e32 v10, 0, v26, vcc_lo
	v_cndmask_b32_e64 v11, 0xbff00000, v27, s1
	s_delay_alu instid0(VALU_DEP_1) | instskip(NEXT) | instid1(VALU_DEP_1)
	v_mul_f64_e32 v[10:11], v[72:73], v[10:11]
	v_div_scale_f64 v[26:27], null, v[36:37], v[36:37], v[10:11]
	s_delay_alu instid0(VALU_DEP_1) | instskip(SKIP_1) | instid1(TRANS32_DEP_1)
	v_rcp_f64_e32 v[50:51], v[26:27]
	v_nop
	v_fma_f64 v[52:53], -v[26:27], v[50:51], 1.0
	s_delay_alu instid0(VALU_DEP_1) | instskip(NEXT) | instid1(VALU_DEP_1)
	v_fmac_f64_e32 v[50:51], v[50:51], v[52:53]
	v_fma_f64 v[52:53], -v[26:27], v[50:51], 1.0
	s_delay_alu instid0(VALU_DEP_1) | instskip(SKIP_1) | instid1(VALU_DEP_1)
	v_fmac_f64_e32 v[50:51], v[50:51], v[52:53]
	v_div_scale_f64 v[52:53], vcc_lo, v[10:11], v[36:37], v[10:11]
	v_mul_f64_e32 v[56:57], v[52:53], v[50:51]
	s_delay_alu instid0(VALU_DEP_1) | instskip(NEXT) | instid1(VALU_DEP_1)
	v_fma_f64 v[26:27], -v[26:27], v[56:57], v[52:53]
	v_div_fmas_f64 v[26:27], v[26:27], v[50:51], v[56:57]
	s_delay_alu instid0(VALU_DEP_1)
	v_div_fixup_f64 v[26:27], v[26:27], v[36:37], v[10:11]
.LBB0_81:
	s_or_b32 exec_lo, exec_lo, s2
	s_clause 0x1
	scratch_load_b64 v[72:73], off, off th:TH_LOAD_LU
	scratch_load_b64 v[36:37], off, off offset:56
	v_add_f64_e64 v[10:11], -v[48:49], -v[38:39]
	s_mov_b64 s[2:3], 0xbf440ed76acf4366
	v_mul_f64_e32 v[2:3], v[118:119], v[2:3]
	v_fma_f64 v[20:21], v[124:125], s[2:3], -v[20:21]
	v_add_f64_e32 v[0:1], v[0:1], v[26:27]
	s_delay_alu instid0(VALU_DEP_4) | instskip(SKIP_2) | instid1(VALU_DEP_1)
	v_add_f64_e64 v[10:11], v[10:11], -v[46:47]
	global_store_b64 v[16:17], v[0:1], off
	v_add_f64_e64 v[10:11], v[10:11], -v[60:61]
	v_add_f64_e64 v[10:11], v[10:11], -v[82:83]
	s_delay_alu instid0(VALU_DEP_1) | instskip(SKIP_1) | instid1(VALU_DEP_2)
	v_add_f64_e64 v[10:11], v[10:11], -v[40:41]
	v_div_scale_f64 v[40:41], null, v[32:33], v[32:33], v[20:21]
	v_fmac_f64_e32 v[10:11], 2.0, v[28:29]
	s_delay_alu instid0(VALU_DEP_2) | instskip(SKIP_1) | instid1(TRANS32_DEP_1)
	v_rcp_f64_e32 v[52:53], v[40:41]
	v_nop
	v_fma_f64 v[60:61], -v[40:41], v[52:53], 1.0
	s_delay_alu instid0(VALU_DEP_1) | instskip(NEXT) | instid1(VALU_DEP_1)
	v_fmac_f64_e32 v[52:53], v[52:53], v[60:61]
	v_fma_f64 v[60:61], -v[40:41], v[52:53], 1.0
	s_delay_alu instid0(VALU_DEP_1)
	v_fmac_f64_e32 v[52:53], v[52:53], v[60:61]
	s_wait_loadcnt 0x1
	v_mul_f64_e32 v[28:29], v[72:73], v[10:11]
	v_mul_f64_e32 v[10:11], v[54:55], v[18:19]
	s_wait_loadcnt 0x0
	v_mul_f64_e32 v[18:19], v[36:37], v[18:19]
	s_delay_alu instid0(VALU_DEP_3) | instskip(NEXT) | instid1(VALU_DEP_3)
	v_div_scale_f64 v[36:37], null, v[86:87], v[86:87], v[28:29]
	v_div_scale_f64 v[38:39], null, v[10:11], v[10:11], v[90:91]
	s_delay_alu instid0(VALU_DEP_3) | instskip(SKIP_3) | instid1(VALU_DEP_4)
	v_div_scale_f64 v[46:47], null, v[18:19], v[18:19], v[90:91]
	v_div_scale_f64 v[64:65], vcc_lo, v[28:29], v[86:87], v[28:29]
	v_div_scale_f64 v[60:61], s3, v[90:91], v[18:19], v[90:91]
	v_rcp_f64_e32 v[48:49], v[36:37]
	v_rcp_f64_e32 v[50:51], v[38:39]
	s_delay_alu instid0(VALU_DEP_3) | instskip(NEXT) | instid1(TRANS32_DEP_3)
	v_rcp_f64_e32 v[54:55], v[46:47]
	v_fma_f64 v[56:57], -v[36:37], v[48:49], 1.0
	s_delay_alu instid0(TRANS32_DEP_2) | instskip(NEXT) | instid1(TRANS32_DEP_1)
	v_fma_f64 v[58:59], -v[38:39], v[50:51], 1.0
	v_fma_f64 v[62:63], -v[46:47], v[54:55], 1.0
	s_delay_alu instid0(VALU_DEP_3) | instskip(NEXT) | instid1(VALU_DEP_3)
	v_fmac_f64_e32 v[48:49], v[48:49], v[56:57]
	v_fmac_f64_e32 v[50:51], v[50:51], v[58:59]
	s_delay_alu instid0(VALU_DEP_3) | instskip(NEXT) | instid1(VALU_DEP_3)
	v_fmac_f64_e32 v[54:55], v[54:55], v[62:63]
	v_fma_f64 v[56:57], -v[36:37], v[48:49], 1.0
	s_delay_alu instid0(VALU_DEP_3) | instskip(NEXT) | instid1(VALU_DEP_3)
	v_fma_f64 v[58:59], -v[38:39], v[50:51], 1.0
	v_fma_f64 v[62:63], -v[46:47], v[54:55], 1.0
	s_delay_alu instid0(VALU_DEP_3) | instskip(SKIP_1) | instid1(VALU_DEP_4)
	v_fmac_f64_e32 v[48:49], v[48:49], v[56:57]
	v_div_scale_f64 v[56:57], s1, v[90:91], v[10:11], v[90:91]
	v_fmac_f64_e32 v[50:51], v[50:51], v[58:59]
	v_div_scale_f64 v[58:59], s2, v[20:21], v[32:33], v[20:21]
	v_fmac_f64_e32 v[54:55], v[54:55], v[62:63]
	v_mul_f64_e32 v[62:63], v[64:65], v[48:49]
	s_delay_alu instid0(VALU_DEP_4) | instskip(NEXT) | instid1(VALU_DEP_4)
	v_mul_f64_e32 v[66:67], v[56:57], v[50:51]
	v_mul_f64_e32 v[68:69], v[58:59], v[52:53]
	s_delay_alu instid0(VALU_DEP_4) | instskip(NEXT) | instid1(VALU_DEP_4)
	v_mul_f64_e32 v[70:71], v[60:61], v[54:55]
	v_fma_f64 v[36:37], -v[36:37], v[62:63], v[64:65]
	s_delay_alu instid0(VALU_DEP_4) | instskip(NEXT) | instid1(VALU_DEP_4)
	v_fma_f64 v[38:39], -v[38:39], v[66:67], v[56:57]
	v_fma_f64 v[40:41], -v[40:41], v[68:69], v[58:59]
	s_delay_alu instid0(VALU_DEP_4) | instskip(NEXT) | instid1(VALU_DEP_4)
	v_fma_f64 v[46:47], -v[46:47], v[70:71], v[60:61]
	v_div_fmas_f64 v[36:37], v[36:37], v[48:49], v[62:63]
	s_mov_b32 vcc_lo, s1
	s_delay_alu instid0(VALU_DEP_4) | instskip(SKIP_1) | instid1(VALU_DEP_4)
	v_div_fmas_f64 v[38:39], v[38:39], v[50:51], v[66:67]
	s_mov_b32 vcc_lo, s2
	v_div_fmas_f64 v[40:41], v[40:41], v[52:53], v[68:69]
	s_mov_b32 vcc_lo, s3
	s_delay_alu instid0(VALU_DEP_4) | instskip(SKIP_2) | instid1(VALU_DEP_2)
	v_div_fmas_f64 v[46:47], v[46:47], v[54:55], v[70:71]
	s_mov_b32 vcc_lo, s0
	s_mov_b64 s[0:1], 0x3e45798ee2308c3a
	v_div_fixup_f64 v[20:21], v[40:41], v[32:33], v[20:21]
	s_delay_alu instid0(VALU_DEP_2) | instskip(NEXT) | instid1(VALU_DEP_2)
	v_div_fixup_f64 v[18:19], v[46:47], v[18:19], v[90:91]
	v_add_f64_e64 v[14:15], v[20:21], -v[14:15]
	s_delay_alu instid0(VALU_DEP_1) | instskip(SKIP_2) | instid1(VALU_DEP_3)
	v_mul_f64_e32 v[20:21], v[18:19], v[14:15]
	v_fmac_f64_e32 v[12:13], v[14:15], v[4:5]
	v_mul_f64_e32 v[14:15], v[18:19], v[24:25]
	v_mul_f64_e32 v[4:5], v[4:5], v[20:21]
	s_delay_alu instid0(VALU_DEP_3) | instskip(NEXT) | instid1(VALU_DEP_2)
	v_fma_f64 v[8:9], v[74:75], v[12:13], -v[8:9]
	v_fmac_f64_e32 v[4:5], v[14:15], v[6:7]
	s_delay_alu instid0(VALU_DEP_2) | instskip(SKIP_1) | instid1(VALU_DEP_2)
	v_mul_f64_e32 v[6:7], v[18:19], v[8:9]
	v_div_fmas_f64 v[8:9], v[42:43], v[22:23], v[30:31]
	v_fma_f64 v[4:5], v[74:75], -v[4:5], -v[6:7]
	scratch_load_b64 v[6:7], off, off offset:104 th:TH_LOAD_LU ; 8-byte Folded Reload
	v_fmac_f64_e32 v[4:5], v[18:19], v[34:35]
	s_wait_loadcnt 0x0
	v_div_fixup_f64 v[6:7], v[8:9], v[44:45], v[6:7]
	s_delay_alu instid0(VALU_DEP_1) | instskip(SKIP_1) | instid1(VALU_DEP_2)
	v_fmac_f64_e32 v[4:5], v[6:7], v[18:19]
	v_div_fixup_f64 v[6:7], v[38:39], v[10:11], v[90:91]
	v_fmac_f64_e32 v[4:5], v[2:3], v[18:19]
	s_delay_alu instid0(VALU_DEP_1) | instskip(NEXT) | instid1(VALU_DEP_1)
	v_fmac_f64_e32 v[4:5], v[80:81], v[6:7]
	v_mul_f64_e32 v[2:3], v[72:73], v[4:5]
	s_delay_alu instid0(VALU_DEP_1) | instskip(NEXT) | instid1(VALU_DEP_1)
	v_div_scale_f64 v[4:5], null, v[86:87], v[86:87], v[2:3]
	v_rcp_f64_e32 v[6:7], v[4:5]
	v_nop
	s_delay_alu instid0(TRANS32_DEP_1) | instskip(NEXT) | instid1(VALU_DEP_1)
	v_fma_f64 v[8:9], -v[4:5], v[6:7], 1.0
	v_fmac_f64_e32 v[6:7], v[6:7], v[8:9]
	s_delay_alu instid0(VALU_DEP_1) | instskip(NEXT) | instid1(VALU_DEP_1)
	v_fma_f64 v[8:9], -v[4:5], v[6:7], 1.0
	v_fmac_f64_e32 v[6:7], v[6:7], v[8:9]
	v_div_scale_f64 v[8:9], vcc_lo, v[2:3], v[86:87], v[2:3]
	s_delay_alu instid0(VALU_DEP_1) | instskip(NEXT) | instid1(VALU_DEP_1)
	v_mul_f64_e32 v[10:11], v[8:9], v[6:7]
	v_fma_f64 v[4:5], -v[4:5], v[10:11], v[8:9]
	s_delay_alu instid0(VALU_DEP_1) | instskip(NEXT) | instid1(VALU_DEP_1)
	v_div_fmas_f64 v[4:5], v[4:5], v[6:7], v[10:11]
                                        ; implicit-def: $vgpr6_vgpr7
	v_div_fixup_f64 v[2:3], v[4:5], v[86:87], v[2:3]
	v_div_fixup_f64 v[4:5], v[36:37], v[86:87], v[28:29]
	s_delay_alu instid0(VALU_DEP_2) | instskip(SKIP_2) | instid1(SALU_CYCLE_1)
	v_cmp_ngt_f64_e64 s0, |v[2:3]|, s[0:1]
	s_wait_xcnt 0x0
	s_and_saveexec_b32 s1, s0
	s_xor_b32 s0, exec_lo, s1
; %bb.82:
	v_mul_f64_e32 v[6:7], s[12:13], v[4:5]
                                        ; implicit-def: $vgpr2_vgpr3
                                        ; implicit-def: $vgpr4_vgpr5
; %bb.83:
	s_or_saveexec_b32 s1, s0
	v_lshl_add_u64 v[0:1], v[76:77], 3, s[8:9]
	s_xor_b32 exec_lo, exec_lo, s1
	s_cbranch_execz .LBB0_85
; %bb.84:
	v_mul_f64_e32 v[6:7], s[12:13], v[2:3]
	s_mov_b64 s[2:3], 0x3e5ade156a5dcb37
	s_delay_alu instid0(VALU_DEP_1) | instskip(SKIP_2) | instid1(VALU_DEP_3)
	v_mul_f64_e32 v[8:9], 0x3ff71547652b82fe, v[6:7]
	v_cmp_nlt_f64_e32 vcc_lo, 0x40900000, v[6:7]
	v_cmp_ngt_f64_e64 s0, 0xc090cc00, v[6:7]
	v_rndne_f64_e32 v[8:9], v[8:9]
	s_delay_alu instid0(VALU_DEP_1) | instskip(SKIP_1) | instid1(VALU_DEP_2)
	v_fmamk_f64 v[10:11], v[8:9], 0xbfe62e42fefa39ef, v[6:7]
	v_cvt_i32_f64_e32 v14, v[8:9]
	v_fmamk_f64 v[10:11], v[8:9], 0xbc7abc9e3b39803f, v[10:11]
	s_delay_alu instid0(VALU_DEP_1) | instskip(NEXT) | instid1(VALU_DEP_1)
	v_fmaak_f64 v[12:13], s[2:3], v[10:11], 0x3e928af3fca7ab0c
	v_fmaak_f64 v[12:13], v[10:11], v[12:13], 0x3ec71dee623fde64
	s_delay_alu instid0(VALU_DEP_1) | instskip(NEXT) | instid1(VALU_DEP_1)
	v_fmaak_f64 v[12:13], v[10:11], v[12:13], 0x3efa01997c89e6b0
	v_fmaak_f64 v[12:13], v[10:11], v[12:13], 0x3f2a01a014761f6e
	;; [unrolled: 3-line block ×4, first 2 shown]
	s_delay_alu instid0(VALU_DEP_1) | instskip(NEXT) | instid1(VALU_DEP_1)
	v_fmaak_f64 v[12:13], v[10:11], v[12:13], 0x3fe000000000000b
	v_fma_f64 v[12:13], v[10:11], v[12:13], 1.0
	s_delay_alu instid0(VALU_DEP_1) | instskip(NEXT) | instid1(VALU_DEP_1)
	v_fma_f64 v[8:9], v[10:11], v[12:13], 1.0
	v_ldexp_f64 v[8:9], v[8:9], v14
	s_delay_alu instid0(VALU_DEP_1) | instskip(NEXT) | instid1(VALU_DEP_1)
	v_add_f64_e32 v[8:9], -1.0, v[8:9]
	v_cndmask_b32_e32 v9, 0x7ff00000, v9, vcc_lo
	s_and_b32 vcc_lo, s0, vcc_lo
	s_delay_alu instid0(VALU_DEP_2) | instskip(NEXT) | instid1(VALU_DEP_2)
	v_cndmask_b32_e32 v6, 0, v8, vcc_lo
	v_cndmask_b32_e64 v7, 0xbff00000, v9, s0
	s_delay_alu instid0(VALU_DEP_1) | instskip(NEXT) | instid1(VALU_DEP_1)
	v_mul_f64_e32 v[4:5], v[4:5], v[6:7]
	v_div_scale_f64 v[6:7], null, v[2:3], v[2:3], v[4:5]
	s_delay_alu instid0(VALU_DEP_1) | instskip(SKIP_1) | instid1(TRANS32_DEP_1)
	v_rcp_f64_e32 v[8:9], v[6:7]
	v_nop
	v_fma_f64 v[10:11], -v[6:7], v[8:9], 1.0
	s_delay_alu instid0(VALU_DEP_1) | instskip(NEXT) | instid1(VALU_DEP_1)
	v_fmac_f64_e32 v[8:9], v[8:9], v[10:11]
	v_fma_f64 v[10:11], -v[6:7], v[8:9], 1.0
	s_delay_alu instid0(VALU_DEP_1) | instskip(SKIP_1) | instid1(VALU_DEP_1)
	v_fmac_f64_e32 v[8:9], v[8:9], v[10:11]
	v_div_scale_f64 v[10:11], vcc_lo, v[4:5], v[2:3], v[4:5]
	v_mul_f64_e32 v[12:13], v[10:11], v[8:9]
	s_delay_alu instid0(VALU_DEP_1) | instskip(NEXT) | instid1(VALU_DEP_1)
	v_fma_f64 v[6:7], -v[6:7], v[12:13], v[10:11]
	v_div_fmas_f64 v[6:7], v[6:7], v[8:9], v[12:13]
	s_delay_alu instid0(VALU_DEP_1)
	v_div_fixup_f64 v[6:7], v[6:7], v[2:3], v[4:5]
.LBB0_85:
	s_or_b32 exec_lo, exec_lo, s1
	scratch_load_b64 v[2:3], off, off offset:56 th:TH_LOAD_LU ; 8-byte Folded Reload
	s_wait_loadcnt 0x0
	v_add_f64_e32 v[2:3], v[2:3], v[6:7]
	global_store_b64 v[0:1], v[2:3], off
.LBB0_86:
	s_sendmsg sendmsg(MSG_DEALLOC_VGPRS)
	s_endpgm
	.section	.rodata,"a",@progbits
	.p2align	6, 0x0
	.amdhsa_kernel _Z21k_forward_rush_larsenPdddPKdi
		.amdhsa_group_segment_fixed_size 0
		.amdhsa_private_segment_fixed_size 436
		.amdhsa_kernarg_size 296
		.amdhsa_user_sgpr_count 2
		.amdhsa_user_sgpr_dispatch_ptr 0
		.amdhsa_user_sgpr_queue_ptr 0
		.amdhsa_user_sgpr_kernarg_segment_ptr 1
		.amdhsa_user_sgpr_dispatch_id 0
		.amdhsa_user_sgpr_kernarg_preload_length 0
		.amdhsa_user_sgpr_kernarg_preload_offset 0
		.amdhsa_user_sgpr_private_segment_size 0
		.amdhsa_wavefront_size32 1
		.amdhsa_uses_dynamic_stack 0
		.amdhsa_enable_private_segment 1
		.amdhsa_system_sgpr_workgroup_id_x 1
		.amdhsa_system_sgpr_workgroup_id_y 0
		.amdhsa_system_sgpr_workgroup_id_z 0
		.amdhsa_system_sgpr_workgroup_info 0
		.amdhsa_system_vgpr_workitem_id 0
		.amdhsa_next_free_vgpr 128
		.amdhsa_next_free_sgpr 18
		.amdhsa_named_barrier_count 0
		.amdhsa_reserve_vcc 1
		.amdhsa_float_round_mode_32 0
		.amdhsa_float_round_mode_16_64 0
		.amdhsa_float_denorm_mode_32 3
		.amdhsa_float_denorm_mode_16_64 3
		.amdhsa_fp16_overflow 0
		.amdhsa_memory_ordered 1
		.amdhsa_forward_progress 1
		.amdhsa_inst_pref_size 255
		.amdhsa_round_robin_scheduling 0
		.amdhsa_exception_fp_ieee_invalid_op 0
		.amdhsa_exception_fp_denorm_src 0
		.amdhsa_exception_fp_ieee_div_zero 0
		.amdhsa_exception_fp_ieee_overflow 0
		.amdhsa_exception_fp_ieee_underflow 0
		.amdhsa_exception_fp_ieee_inexact 0
		.amdhsa_exception_int_div_zero 0
	.end_amdhsa_kernel
	.text
.Lfunc_end0:
	.size	_Z21k_forward_rush_larsenPdddPKdi, .Lfunc_end0-_Z21k_forward_rush_larsenPdddPKdi
                                        ; -- End function
	.set _Z21k_forward_rush_larsenPdddPKdi.num_vgpr, 128
	.set _Z21k_forward_rush_larsenPdddPKdi.num_agpr, 0
	.set _Z21k_forward_rush_larsenPdddPKdi.numbered_sgpr, 18
	.set _Z21k_forward_rush_larsenPdddPKdi.num_named_barrier, 0
	.set _Z21k_forward_rush_larsenPdddPKdi.private_seg_size, 436
	.set _Z21k_forward_rush_larsenPdddPKdi.uses_vcc, 1
	.set _Z21k_forward_rush_larsenPdddPKdi.uses_flat_scratch, 1
	.set _Z21k_forward_rush_larsenPdddPKdi.has_dyn_sized_stack, 0
	.set _Z21k_forward_rush_larsenPdddPKdi.has_recursion, 0
	.set _Z21k_forward_rush_larsenPdddPKdi.has_indirect_call, 0
	.section	.AMDGPU.csdata,"",@progbits
; Kernel info:
; codeLenInByte = 50748
; TotalNumSgprs: 20
; NumVgprs: 128
; ScratchSize: 436
; MemoryBound: 0
; FloatMode: 240
; IeeeMode: 1
; LDSByteSize: 0 bytes/workgroup (compile time only)
; SGPRBlocks: 0
; VGPRBlocks: 7
; NumSGPRsForWavesPerEU: 20
; NumVGPRsForWavesPerEU: 128
; NamedBarCnt: 0
; Occupancy: 8
; WaveLimiterHint : 0
; COMPUTE_PGM_RSRC2:SCRATCH_EN: 1
; COMPUTE_PGM_RSRC2:USER_SGPR: 2
; COMPUTE_PGM_RSRC2:TRAP_HANDLER: 0
; COMPUTE_PGM_RSRC2:TGID_X_EN: 1
; COMPUTE_PGM_RSRC2:TGID_Y_EN: 0
; COMPUTE_PGM_RSRC2:TGID_Z_EN: 0
; COMPUTE_PGM_RSRC2:TIDIG_COMP_CNT: 0
	.text
	.p2alignl 7, 3214868480
	.fill 96, 4, 3214868480
	.section	.AMDGPU.gpr_maximums,"",@progbits
	.set amdgpu.max_num_vgpr, 0
	.set amdgpu.max_num_agpr, 0
	.set amdgpu.max_num_sgpr, 0
	.text
	.type	__hip_cuid_10697cf056296459,@object ; @__hip_cuid_10697cf056296459
	.section	.bss,"aw",@nobits
	.globl	__hip_cuid_10697cf056296459
__hip_cuid_10697cf056296459:
	.byte	0                               ; 0x0
	.size	__hip_cuid_10697cf056296459, 1

	.ident	"AMD clang version 22.0.0git (https://github.com/RadeonOpenCompute/llvm-project roc-7.2.4 26084 f58b06dce1f9c15707c5f808fd002e18c2accf7e)"
	.section	".note.GNU-stack","",@progbits
	.addrsig
	.addrsig_sym __hip_cuid_10697cf056296459
	.amdgpu_metadata
---
amdhsa.kernels:
  - .args:
      - .address_space:  global
        .offset:         0
        .size:           8
        .value_kind:     global_buffer
      - .offset:         8
        .size:           8
        .value_kind:     by_value
      - .offset:         16
        .size:           8
        .value_kind:     by_value
      - .address_space:  global
        .offset:         24
        .size:           8
        .value_kind:     global_buffer
      - .offset:         32
        .size:           4
        .value_kind:     by_value
      - .offset:         40
        .size:           4
        .value_kind:     hidden_block_count_x
      - .offset:         44
        .size:           4
        .value_kind:     hidden_block_count_y
      - .offset:         48
        .size:           4
        .value_kind:     hidden_block_count_z
      - .offset:         52
        .size:           2
        .value_kind:     hidden_group_size_x
      - .offset:         54
        .size:           2
        .value_kind:     hidden_group_size_y
      - .offset:         56
        .size:           2
        .value_kind:     hidden_group_size_z
      - .offset:         58
        .size:           2
        .value_kind:     hidden_remainder_x
      - .offset:         60
        .size:           2
        .value_kind:     hidden_remainder_y
      - .offset:         62
        .size:           2
        .value_kind:     hidden_remainder_z
      - .offset:         80
        .size:           8
        .value_kind:     hidden_global_offset_x
      - .offset:         88
        .size:           8
        .value_kind:     hidden_global_offset_y
      - .offset:         96
        .size:           8
        .value_kind:     hidden_global_offset_z
      - .offset:         104
        .size:           2
        .value_kind:     hidden_grid_dims
    .group_segment_fixed_size: 0
    .kernarg_segment_align: 8
    .kernarg_segment_size: 296
    .language:       OpenCL C
    .language_version:
      - 2
      - 0
    .max_flat_workgroup_size: 1024
    .name:           _Z21k_forward_rush_larsenPdddPKdi
    .private_segment_fixed_size: 436
    .sgpr_count:     20
    .sgpr_spill_count: 0
    .symbol:         _Z21k_forward_rush_larsenPdddPKdi.kd
    .uniform_work_group_size: 1
    .uses_dynamic_stack: false
    .vgpr_count:     128
    .vgpr_spill_count: 132
    .wavefront_size: 32
amdhsa.target:   amdgcn-amd-amdhsa--gfx1250
amdhsa.version:
  - 1
  - 2
...

	.end_amdgpu_metadata
